;; amdgpu-corpus repo=ROCm/rocFFT kind=compiled arch=gfx1201 opt=O3
	.text
	.amdgcn_target "amdgcn-amd-amdhsa--gfx1201"
	.amdhsa_code_object_version 6
	.protected	bluestein_single_fwd_len1320_dim1_dp_op_CI_CI ; -- Begin function bluestein_single_fwd_len1320_dim1_dp_op_CI_CI
	.globl	bluestein_single_fwd_len1320_dim1_dp_op_CI_CI
	.p2align	8
	.type	bluestein_single_fwd_len1320_dim1_dp_op_CI_CI,@function
bluestein_single_fwd_len1320_dim1_dp_op_CI_CI: ; @bluestein_single_fwd_len1320_dim1_dp_op_CI_CI
; %bb.0:
	s_load_b128 s[8:11], s[0:1], 0x28
	v_mul_u32_u24_e32 v1, 0x18e, v0
	s_mov_b32 s2, exec_lo
	v_mov_b32_e32 v149, 0
	s_delay_alu instid0(VALU_DEP_2) | instskip(NEXT) | instid1(VALU_DEP_1)
	v_lshrrev_b32_e32 v1, 16, v1
	v_add_nc_u32_e32 v148, ttmp9, v1
	s_wait_kmcnt 0x0
	s_delay_alu instid0(VALU_DEP_1)
	v_cmpx_gt_u64_e64 s[8:9], v[148:149]
	s_cbranch_execz .LBB0_31
; %bb.1:
	s_clause 0x1
	s_load_b64 s[12:13], s[0:1], 0x0
	s_load_b64 s[8:9], s[0:1], 0x38
	v_mul_lo_u16 v1, 0xa5, v1
	s_delay_alu instid0(VALU_DEP_1) | instskip(NEXT) | instid1(VALU_DEP_1)
	v_sub_nc_u16 v0, v0, v1
	v_and_b32_e32 v230, 0xffff, v0
	v_cmp_gt_u16_e32 vcc_lo, 0x78, v0
	s_delay_alu instid0(VALU_DEP_2)
	v_lshlrev_b32_e32 v229, 4, v230
	s_and_saveexec_b32 s3, vcc_lo
	s_cbranch_execz .LBB0_3
; %bb.2:
	s_load_b64 s[4:5], s[0:1], 0x18
	s_wait_kmcnt 0x0
	s_load_b128 s[4:7], s[4:5], 0x0
	s_wait_kmcnt 0x0
	v_mad_co_u64_u32 v[8:9], null, s4, v230, 0
	v_mad_co_u64_u32 v[0:1], null, s6, v148, 0
	s_delay_alu instid0(VALU_DEP_2) | instskip(NEXT) | instid1(VALU_DEP_1)
	v_mov_b32_e32 v2, v9
	v_mad_co_u64_u32 v[3:4], null, s7, v148, v[1:2]
	s_delay_alu instid0(VALU_DEP_1) | instskip(SKIP_2) | instid1(VALU_DEP_2)
	v_mov_b32_e32 v1, v3
	v_mad_co_u64_u32 v[4:5], null, s5, v230, v[2:3]
	s_mul_u64 s[4:5], s[4:5], 0x780
	v_lshlrev_b64_e32 v[10:11], 4, v[0:1]
	s_delay_alu instid0(VALU_DEP_2) | instskip(SKIP_4) | instid1(VALU_DEP_1)
	v_mov_b32_e32 v9, v4
	s_clause 0x1
	global_load_b128 v[0:3], v229, s[12:13]
	global_load_b128 v[4:7], v229, s[12:13] offset:1920
	v_add_co_u32 v18, s2, s10, v10
	v_add_co_ci_u32_e64 v19, s2, s11, v11, s2
	v_lshlrev_b64_e32 v[16:17], 4, v[8:9]
	s_clause 0x1
	global_load_b128 v[8:11], v229, s[12:13] offset:3840
	global_load_b128 v[12:15], v229, s[12:13] offset:5760
	v_add_co_u32 v32, s2, v18, v16
	s_wait_alu 0xf1ff
	v_add_co_ci_u32_e64 v33, s2, v19, v17, s2
	s_clause 0x1
	global_load_b128 v[16:19], v229, s[12:13] offset:7680
	global_load_b128 v[20:23], v229, s[12:13] offset:9600
	s_wait_alu 0xfffe
	v_add_co_u32 v36, s2, v32, s4
	s_wait_alu 0xf1ff
	v_add_co_ci_u32_e64 v37, s2, s5, v33, s2
	s_clause 0x1
	global_load_b128 v[24:27], v229, s[12:13] offset:11520
	global_load_b128 v[28:31], v229, s[12:13] offset:13440
	v_add_co_u32 v40, s2, v36, s4
	s_wait_alu 0xf1ff
	v_add_co_ci_u32_e64 v41, s2, s5, v37, s2
	s_clause 0x1
	global_load_b128 v[32:35], v[32:33], off
	global_load_b128 v[36:39], v[36:37], off
	v_add_co_u32 v44, s2, v40, s4
	s_wait_alu 0xf1ff
	v_add_co_ci_u32_e64 v45, s2, s5, v41, s2
	s_delay_alu instid0(VALU_DEP_2) | instskip(SKIP_1) | instid1(VALU_DEP_2)
	v_add_co_u32 v48, s2, v44, s4
	s_wait_alu 0xf1ff
	v_add_co_ci_u32_e64 v49, s2, s5, v45, s2
	s_clause 0x1
	global_load_b128 v[40:43], v[40:41], off
	global_load_b128 v[44:47], v[44:45], off
	v_add_co_u32 v52, s2, v48, s4
	s_wait_alu 0xf1ff
	v_add_co_ci_u32_e64 v53, s2, s5, v49, s2
	global_load_b128 v[48:51], v[48:49], off
	v_add_co_u32 v56, s2, v52, s4
	s_wait_alu 0xf1ff
	v_add_co_ci_u32_e64 v57, s2, s5, v53, s2
	;; [unrolled: 4-line block ×6, first 2 shown]
	s_clause 0x1
	global_load_b128 v[68:71], v229, s[12:13] offset:15360
	global_load_b128 v[72:75], v229, s[12:13] offset:17280
	global_load_b128 v[76:79], v[76:77], off
	global_load_b128 v[80:83], v229, s[12:13] offset:19200
	global_load_b128 v[84:87], v[84:85], off
	s_wait_loadcnt 0xd
	v_mul_f64_e32 v[88:89], v[34:35], v[2:3]
	v_mul_f64_e32 v[2:3], v[32:33], v[2:3]
	s_wait_loadcnt 0xc
	v_mul_f64_e32 v[90:91], v[38:39], v[6:7]
	v_mul_f64_e32 v[6:7], v[36:37], v[6:7]
	;; [unrolled: 3-line block ×11, first 2 shown]
	v_fma_f64 v[30:31], v[32:33], v[0:1], v[88:89]
	v_fma_f64 v[32:33], v[34:35], v[0:1], -v[2:3]
	v_fma_f64 v[0:1], v[36:37], v[4:5], v[90:91]
	v_fma_f64 v[2:3], v[38:39], v[4:5], -v[6:7]
	;; [unrolled: 2-line block ×11, first 2 shown]
	ds_store_b128 v229, v[30:33]
	ds_store_b128 v229, v[0:3] offset:1920
	ds_store_b128 v229, v[4:7] offset:3840
	;; [unrolled: 1-line block ×10, first 2 shown]
.LBB0_3:
	s_or_b32 exec_lo, exec_lo, s3
	s_clause 0x1
	s_load_b64 s[4:5], s[0:1], 0x20
	s_load_b64 s[2:3], s[0:1], 0x8
	global_wb scope:SCOPE_SE
	s_wait_dscnt 0x0
	s_wait_kmcnt 0x0
	s_barrier_signal -1
	s_barrier_wait -1
	global_inv scope:SCOPE_SE
                                        ; implicit-def: $vgpr12_vgpr13
                                        ; implicit-def: $vgpr44_vgpr45
                                        ; implicit-def: $vgpr36_vgpr37
                                        ; implicit-def: $vgpr24_vgpr25
                                        ; implicit-def: $vgpr16_vgpr17
                                        ; implicit-def: $vgpr8_vgpr9
                                        ; implicit-def: $vgpr4_vgpr5
                                        ; implicit-def: $vgpr28_vgpr29
                                        ; implicit-def: $vgpr32_vgpr33
                                        ; implicit-def: $vgpr48_vgpr49
                                        ; implicit-def: $vgpr40_vgpr41
	s_and_saveexec_b32 s0, vcc_lo
	s_cbranch_execz .LBB0_5
; %bb.4:
	ds_load_b128 v[12:15], v229
	ds_load_b128 v[40:43], v229 offset:1920
	ds_load_b128 v[48:51], v229 offset:3840
	ds_load_b128 v[44:47], v229 offset:5760
	ds_load_b128 v[36:39], v229 offset:7680
	ds_load_b128 v[32:35], v229 offset:9600
	ds_load_b128 v[28:31], v229 offset:11520
	ds_load_b128 v[24:27], v229 offset:13440
	ds_load_b128 v[16:19], v229 offset:15360
	ds_load_b128 v[8:11], v229 offset:17280
	ds_load_b128 v[4:7], v229 offset:19200
.LBB0_5:
	s_wait_alu 0xfffe
	s_or_b32 exec_lo, exec_lo, s0
	s_wait_dscnt 0x0
	v_add_f64_e64 v[60:61], v[42:43], -v[6:7]
	v_add_f64_e64 v[54:55], v[40:41], -v[4:5]
	s_mov_b32 s6, 0xf8bb580b
	s_mov_b32 s0, 0x8eee2c13
	;; [unrolled: 1-line block ×6, first 2 shown]
	v_add_f64_e32 v[52:53], v[4:5], v[40:41]
	v_add_f64_e32 v[62:63], v[6:7], v[42:43]
	v_add_f64_e64 v[58:59], v[50:51], -v[10:11]
	v_add_f64_e64 v[56:57], v[48:49], -v[8:9]
	s_mov_b32 s20, 0x8764f0ba
	s_mov_b32 s14, 0xd9c712b6
	;; [unrolled: 1-line block ×10, first 2 shown]
	v_add_f64_e32 v[84:85], v[8:9], v[48:49]
	v_add_f64_e32 v[151:152], v[10:11], v[50:51]
	v_add_f64_e64 v[136:137], v[46:47], -v[18:19]
	v_add_f64_e64 v[72:73], v[44:45], -v[16:17]
	s_mov_b32 s28, 0x7f775887
	s_mov_b32 s24, 0x9bcd5057
	;; [unrolled: 1-line block ×5, first 2 shown]
	s_wait_alu 0xfffe
	s_mov_b32 s22, s0
	v_add_f64_e32 v[82:83], v[44:45], v[16:17]
	v_add_f64_e32 v[155:156], v[46:47], v[18:19]
	v_add_f64_e64 v[74:75], v[36:37], -v[24:25]
	v_add_f64_e64 v[132:133], v[38:39], -v[26:27]
	s_mov_b32 s31, 0x3fefac9e
	s_mov_b32 s30, s10
	v_mul_f64_e32 v[64:65], s[6:7], v[60:61]
	v_mul_f64_e32 v[66:67], s[6:7], v[54:55]
	;; [unrolled: 1-line block ×6, first 2 shown]
	v_add_f64_e32 v[88:89], v[36:37], v[24:25]
	v_add_f64_e32 v[153:154], v[38:39], v[26:27]
	v_add_f64_e64 v[80:81], v[32:33], -v[28:29]
	v_add_f64_e64 v[124:125], v[34:35], -v[30:31]
	v_mul_f64_e32 v[86:87], s[0:1], v[58:59]
	v_mul_f64_e32 v[92:93], s[0:1], v[56:57]
	;; [unrolled: 1-line block ×6, first 2 shown]
	s_mov_b32 s35, 0xbfd207e7
	s_mov_b32 s37, 0x3fe14ced
	;; [unrolled: 1-line block ×4, first 2 shown]
	v_add_f64_e32 v[149:150], v[30:31], v[34:35]
	v_mul_lo_u16 v232, v230, 11
	global_wb scope:SCOPE_SE
	s_barrier_signal -1
	v_mul_f64_e32 v[94:95], s[10:11], v[136:137]
	v_mul_f64_e32 v[104:105], s[10:11], v[72:73]
	;; [unrolled: 1-line block ×6, first 2 shown]
	s_barrier_wait -1
	global_inv scope:SCOPE_SE
	v_mul_f64_e32 v[96:97], s[26:27], v[74:75]
	v_mul_f64_e32 v[90:91], s[26:27], v[132:133]
	;; [unrolled: 1-line block ×4, first 2 shown]
	v_fma_f64 v[0:1], v[52:53], s[20:21], v[64:65]
	v_fma_f64 v[2:3], v[62:63], s[20:21], -v[66:67]
	v_fma_f64 v[20:21], v[52:53], s[14:15], v[68:69]
	v_fma_f64 v[22:23], v[62:63], s[14:15], -v[70:71]
	;; [unrolled: 2-line block ×3, first 2 shown]
	v_mul_f64_e32 v[118:119], s[6:7], v[132:133]
	v_mul_f64_e32 v[134:135], s[6:7], v[74:75]
	;; [unrolled: 1-line block ×3, first 2 shown]
	v_fma_f64 v[98:99], v[84:85], s[14:15], v[86:87]
	v_fma_f64 v[100:101], v[151:152], s[14:15], -v[92:93]
	v_fma_f64 v[108:109], v[84:85], s[28:29], v[102:103]
	v_fma_f64 v[114:115], v[151:152], s[28:29], -v[116:117]
	;; [unrolled: 2-line block ×6, first 2 shown]
	v_fma_f64 v[171:172], v[153:154], s[28:29], -v[96:97]
	v_fma_f64 v[169:170], v[88:89], s[28:29], v[90:91]
	v_fma_f64 v[173:174], v[88:89], s[16:17], v[106:107]
	v_fma_f64 v[175:176], v[153:154], s[16:17], -v[112:113]
	v_add_f64_e32 v[0:1], v[12:13], v[0:1]
	v_add_f64_e32 v[2:3], v[14:15], v[2:3]
	;; [unrolled: 1-line block ×6, first 2 shown]
	v_fma_f64 v[177:178], v[88:89], s[20:21], v[118:119]
	v_fma_f64 v[179:180], v[153:154], s[20:21], -v[134:135]
	v_add_f64_e32 v[0:1], v[98:99], v[0:1]
	v_add_f64_e32 v[2:3], v[100:101], v[2:3]
	v_add_f64_e32 v[20:21], v[108:109], v[20:21]
	v_add_f64_e32 v[22:23], v[114:115], v[22:23]
	v_add_f64_e32 v[76:77], v[120:121], v[76:77]
	v_add_f64_e32 v[78:79], v[126:127], v[78:79]
	v_add_f64_e32 v[98:99], v[28:29], v[32:33]
	v_mul_f64_e32 v[100:101], s[34:35], v[124:125]
	v_mul_f64_e32 v[108:109], s[34:35], v[80:81]
	v_mul_f64_e32 v[114:115], s[36:37], v[124:125]
	v_mul_f64_e32 v[120:121], s[36:37], v[80:81]
	v_mul_f64_e32 v[126:127], s[26:27], v[124:125]
	v_add_f64_e32 v[0:1], v[157:158], v[0:1]
	v_add_f64_e32 v[2:3], v[159:160], v[2:3]
	;; [unrolled: 1-line block ×6, first 2 shown]
	v_fma_f64 v[167:168], v[149:150], s[28:29], -v[130:131]
	v_fma_f64 v[157:158], v[98:99], s[24:25], v[100:101]
	v_fma_f64 v[159:160], v[149:150], s[24:25], -v[108:109]
	v_fma_f64 v[161:162], v[98:99], s[20:21], v[114:115]
	;; [unrolled: 2-line block ×3, first 2 shown]
	v_add_f64_e32 v[0:1], v[169:170], v[0:1]
	v_add_f64_e32 v[2:3], v[171:172], v[2:3]
	;; [unrolled: 1-line block ×12, first 2 shown]
	s_and_saveexec_b32 s33, vcc_lo
	s_cbranch_execz .LBB0_7
; %bb.6:
	v_add_f64_e32 v[42:43], v[14:15], v[42:43]
	v_add_f64_e32 v[40:41], v[12:13], v[40:41]
	v_mul_f64_e32 v[157:158], s[14:15], v[62:63]
	v_mul_f64_e32 v[159:160], s[14:15], v[52:53]
	;; [unrolled: 1-line block ×3, first 2 shown]
	s_mov_b32 s39, 0x3fe82f19
	s_mov_b32 s38, s26
	v_mul_f64_e32 v[163:164], s[20:21], v[151:152]
	v_mul_f64_e32 v[167:168], s[16:17], v[151:152]
	;; [unrolled: 1-line block ×15, first 2 shown]
	v_add_f64_e32 v[42:43], v[50:51], v[42:43]
	v_add_f64_e32 v[40:41], v[48:49], v[40:41]
	v_mul_f64_e32 v[48:49], s[28:29], v[62:63]
	v_mul_f64_e32 v[50:51], s[16:17], v[62:63]
	v_add_f64_e64 v[68:69], v[159:160], -v[68:69]
	v_fma_f64 v[159:160], v[56:57], s[36:37], v[163:164]
	v_add_f64_e32 v[146:147], v[146:147], v[171:172]
	v_add_f64_e32 v[116:117], v[116:117], v[181:182]
	v_fma_f64 v[171:172], v[84:85], s[16:17], v[58:59]
	v_fma_f64 v[58:59], v[84:85], s[16:17], -v[58:59]
	v_add_f64_e64 v[144:145], v[173:174], -v[144:145]
	v_add_f64_e32 v[92:93], v[92:93], v[151:152]
	v_add_f64_e64 v[86:87], v[187:188], -v[86:87]
	v_add_f64_e32 v[140:141], v[140:141], v[169:170]
	v_add_f64_e32 v[122:123], v[122:123], v[179:180]
	v_fma_f64 v[187:188], v[72:73], s[36:37], v[165:166]
	v_add_f64_e64 v[128:129], v[175:176], -v[128:129]
	v_fma_f64 v[169:170], v[82:83], s[28:29], -v[185:186]
	v_mul_f64_e32 v[181:182], s[24:25], v[149:150]
	v_add_f64_e32 v[42:43], v[46:47], v[42:43]
	v_add_f64_e32 v[40:41], v[44:45], v[40:41]
	v_mul_f64_e32 v[44:45], s[24:25], v[62:63]
	v_mul_f64_e32 v[46:47], s[34:35], v[60:61]
	;; [unrolled: 1-line block ×4, first 2 shown]
	v_fma_f64 v[193:194], v[54:55], s[38:39], v[48:49]
	v_fma_f64 v[48:49], v[54:55], s[26:27], v[48:49]
	v_add_f64_e32 v[50:51], v[142:143], v[50:51]
	v_add_f64_e32 v[68:69], v[12:13], v[68:69]
	v_mul_f64_e32 v[142:143], s[22:23], v[132:133]
	v_add_f64_e32 v[38:39], v[38:39], v[42:43]
	v_add_f64_e32 v[36:37], v[36:37], v[40:41]
	v_mul_f64_e32 v[40:41], s[20:21], v[52:53]
	v_fma_f64 v[189:190], v[54:55], s[18:19], v[44:45]
	v_fma_f64 v[44:45], v[54:55], s[34:35], v[44:45]
	v_add_f64_e32 v[54:55], v[70:71], v[157:158]
	v_add_f64_e64 v[70:71], v[161:162], -v[138:139]
	v_fma_f64 v[191:192], v[52:53], s[24:25], v[46:47]
	v_fma_f64 v[138:139], v[52:53], s[28:29], -v[60:61]
	v_fma_f64 v[46:47], v[52:53], s[24:25], -v[46:47]
	v_fma_f64 v[52:53], v[52:53], s[28:29], v[60:61]
	v_add_f64_e32 v[60:61], v[66:67], v[62:63]
	v_mul_f64_e32 v[62:63], s[24:25], v[82:83]
	v_fma_f64 v[157:158], v[56:57], s[6:7], v[163:164]
	v_fma_f64 v[161:162], v[56:57], s[10:11], v[167:168]
	;; [unrolled: 1-line block ×4, first 2 shown]
	v_fma_f64 v[167:168], v[84:85], s[20:21], -v[177:178]
	v_add_f64_e64 v[84:85], v[183:184], -v[102:103]
	v_add_f64_e32 v[48:49], v[14:15], v[48:49]
	v_add_f64_e32 v[50:51], v[14:15], v[50:51]
	v_mul_f64_e32 v[42:43], s[28:29], v[155:156]
	v_add_f64_e32 v[173:174], v[14:15], v[193:194]
	v_mul_f64_e32 v[66:67], s[28:29], v[153:154]
	v_mul_f64_e32 v[177:178], s[24:25], v[98:99]
	v_add_f64_e32 v[34:35], v[34:35], v[38:39]
	v_add_f64_e32 v[32:33], v[32:33], v[36:37]
	v_add_f64_e64 v[36:37], v[40:41], -v[64:65]
	v_mul_f64_e32 v[38:39], s[6:7], v[136:137]
	v_add_f64_e32 v[102:103], v[14:15], v[189:190]
	v_add_f64_e32 v[54:55], v[14:15], v[54:55]
	;; [unrolled: 1-line block ×3, first 2 shown]
	v_mul_f64_e32 v[64:65], s[16:17], v[82:83]
	v_add_f64_e32 v[151:152], v[12:13], v[191:192]
	v_add_f64_e32 v[138:139], v[12:13], v[138:139]
	v_add_f64_e32 v[44:45], v[14:15], v[44:45]
	v_add_f64_e32 v[46:47], v[12:13], v[46:47]
	v_add_f64_e32 v[52:53], v[12:13], v[52:53]
	v_mul_f64_e32 v[40:41], s[16:17], v[155:156]
	v_add_f64_e32 v[14:15], v[14:15], v[60:61]
	v_add_f64_e64 v[62:63], v[62:63], -v[110:111]
	v_mul_f64_e32 v[136:137], s[14:15], v[153:154]
	v_mul_f64_e32 v[60:61], s[20:21], v[88:89]
	;; [unrolled: 1-line block ×3, first 2 shown]
	v_add_f64_e32 v[48:49], v[56:57], v[48:49]
	v_add_f64_e32 v[50:51], v[146:147], v[50:51]
	;; [unrolled: 1-line block ×3, first 2 shown]
	v_fma_f64 v[183:184], v[72:73], s[38:39], v[42:43]
	v_fma_f64 v[42:43], v[72:73], s[26:27], v[42:43]
	;; [unrolled: 1-line block ×4, first 2 shown]
	v_mul_f64_e32 v[110:111], s[22:23], v[124:125]
	v_mul_f64_e32 v[84:85], s[28:29], v[149:150]
	v_add_f64_e32 v[66:67], v[96:97], v[66:67]
	v_add_f64_e64 v[96:97], v[177:178], -v[100:101]
	v_add_f64_e32 v[30:31], v[30:31], v[34:35]
	v_add_f64_e32 v[28:29], v[28:29], v[32:33]
	v_add_f64_e32 v[12:13], v[12:13], v[36:37]
	v_mul_f64_e32 v[32:33], s[16:17], v[153:154]
	v_mul_f64_e32 v[34:35], s[34:35], v[132:133]
	;; [unrolled: 1-line block ×4, first 2 shown]
	v_add_f64_e32 v[54:55], v[116:117], v[54:55]
	v_fma_f64 v[175:176], v[82:83], s[20:21], v[38:39]
	v_fma_f64 v[38:39], v[82:83], s[20:21], -v[38:39]
	v_add_f64_e32 v[82:83], v[157:158], v[102:103]
	v_add_f64_e32 v[68:69], v[144:145], v[70:71]
	v_add_f64_e64 v[64:65], v[64:65], -v[94:95]
	v_add_f64_e32 v[94:95], v[163:164], v[151:152]
	v_add_f64_e32 v[58:59], v[58:59], v[138:139]
	;; [unrolled: 1-line block ×6, first 2 shown]
	v_mul_f64_e32 v[153:154], s[28:29], v[88:89]
	v_add_f64_e32 v[40:41], v[104:105], v[40:41]
	v_add_f64_e32 v[14:15], v[92:93], v[14:15]
	v_mul_f64_e32 v[92:93], s[10:11], v[124:125]
	v_fma_f64 v[124:125], v[88:89], s[14:15], v[142:143]
	v_fma_f64 v[138:139], v[88:89], s[14:15], -v[142:143]
	v_add_f64_e32 v[50:51], v[140:141], v[50:51]
	v_add_f64_e32 v[56:57], v[62:63], v[56:57]
	v_mul_f64_e32 v[70:71], s[28:29], v[98:99]
	v_fma_f64 v[116:117], v[74:75], s[0:1], v[136:137]
	v_add_f64_e64 v[60:61], v[60:61], -v[118:119]
	v_mul_f64_e32 v[104:105], s[14:15], v[149:150]
	v_fma_f64 v[136:137], v[74:75], s[22:23], v[136:137]
	v_fma_f64 v[142:143], v[74:75], s[18:19], v[155:156]
	v_fma_f64 v[74:75], v[74:75], s[34:35], v[155:156]
	v_add_f64_e32 v[48:49], v[72:73], v[48:49]
	v_add_f64_e32 v[84:85], v[130:131], v[84:85]
	;; [unrolled: 1-line block ×5, first 2 shown]
	v_mul_f64_e32 v[28:29], s[20:21], v[98:99]
	v_mul_f64_e32 v[30:31], s[20:21], v[149:150]
	;; [unrolled: 1-line block ×3, first 2 shown]
	v_fma_f64 v[144:145], v[88:89], s[24:25], v[34:35]
	v_fma_f64 v[34:35], v[88:89], s[24:25], -v[34:35]
	v_add_f64_e32 v[36:37], v[134:135], v[36:37]
	v_add_f64_e32 v[32:33], v[112:113], v[32:33]
	v_add_f64_e64 v[88:89], v[132:133], -v[106:107]
	v_add_f64_e32 v[54:55], v[122:123], v[54:55]
	v_add_f64_e32 v[82:83], v[183:184], v[82:83]
	;; [unrolled: 1-line block ×9, first 2 shown]
	v_add_f64_e64 v[90:91], v[153:154], -v[90:91]
	v_add_f64_e32 v[14:15], v[40:41], v[14:15]
	v_fma_f64 v[58:59], v[98:99], s[16:17], -v[92:93]
	v_fma_f64 v[68:69], v[98:99], s[14:15], v[110:111]
	v_add_f64_e64 v[70:71], v[70:71], -v[126:127]
	v_fma_f64 v[72:73], v[80:81], s[22:23], v[104:105]
	v_add_f64_e32 v[48:49], v[74:75], v[48:49]
	v_add_f64_e32 v[18:19], v[18:19], v[26:27]
	;; [unrolled: 1-line block ×4, first 2 shown]
	v_add_f64_e64 v[28:29], v[28:29], -v[114:115]
	v_fma_f64 v[26:27], v[98:99], s[16:17], v[92:93]
	v_fma_f64 v[24:25], v[80:81], s[30:31], v[86:87]
	;; [unrolled: 1-line block ×3, first 2 shown]
	v_add_f64_e32 v[86:87], v[120:121], v[30:31]
	v_add_f64_e32 v[36:37], v[36:37], v[50:51]
	v_fma_f64 v[64:65], v[80:81], s[0:1], v[104:105]
	v_add_f64_e32 v[50:51], v[88:89], v[56:57]
	v_add_f64_e32 v[32:33], v[32:33], v[54:55]
	;; [unrolled: 1-line block ×4, first 2 shown]
	v_fma_f64 v[80:81], v[98:99], s[14:15], -v[110:111]
	v_add_f64_e32 v[82:83], v[124:125], v[94:95]
	v_add_f64_e32 v[38:39], v[34:35], v[38:39]
	;; [unrolled: 1-line block ×24, first 2 shown]
	v_and_b32_e32 v40, 0xffff, v232
	s_delay_alu instid0(VALU_DEP_1)
	v_lshlrev_b32_e32 v40, 4, v40
	v_add_f64_e32 v[6:7], v[6:7], v[60:61]
	v_add_f64_e32 v[4:5], v[4:5], v[62:63]
	;; [unrolled: 1-line block ×3, first 2 shown]
	ds_store_b128 v40, v[20:23] offset:128
	ds_store_b128 v40, v[76:79] offset:144
	;; [unrolled: 1-line block ×8, first 2 shown]
	ds_store_b128 v40, v[4:7]
	ds_store_b128 v40, v[36:39] offset:16
	ds_store_b128 v40, v[0:3] offset:160
.LBB0_7:
	s_or_b32 exec_lo, exec_lo, s33
	v_and_b32_e32 v4, 0xff, v230
	v_add_nc_u16 v116, v230, 0xa5
	v_add_nc_u16 v36, v230, 0x14a
	v_add_co_u32 v6, null, 0x1ef, v230
	s_delay_alu instid0(VALU_DEP_4) | instskip(NEXT) | instid1(VALU_DEP_4)
	v_mul_lo_u16 v4, 0x75, v4
	v_and_b32_e32 v117, 0xffff, v116
	s_delay_alu instid0(VALU_DEP_4)
	v_and_b32_e32 v7, 0xffff, v36
	s_load_b128 s[4:7], s[4:5], 0x0
	global_wb scope:SCOPE_SE
	s_wait_dscnt 0x0
	v_lshrrev_b16 v4, 8, v4
	v_mul_u32_u24_e32 v38, 0xba2f, v117
	v_mul_u32_u24_e32 v37, 0xba2f, v7
	s_wait_kmcnt 0x0
	s_barrier_signal -1
	s_barrier_wait -1
	v_sub_nc_u16 v5, v230, v4
	v_lshrrev_b32_e32 v72, 19, v38
	v_lshrrev_b32_e32 v73, 19, v37
	global_inv scope:SCOPE_SE
	v_and_b32_e32 v24, 0xffff, v230
	v_lshrrev_b16 v5, 1, v5
	v_cmp_gt_u16_e64 s0, 0x6e, v230
	v_mul_lo_u16 v7, v73, 11
	s_delay_alu instid0(VALU_DEP_4) | instskip(NEXT) | instid1(VALU_DEP_4)
	v_lshlrev_b32_e32 v231, 4, v24
	v_and_b32_e32 v5, 0x7f, v5
	s_delay_alu instid0(VALU_DEP_3) | instskip(NEXT) | instid1(VALU_DEP_2)
	v_sub_nc_u16 v80, v36, v7
	v_add_nc_u16 v4, v5, v4
	v_and_b32_e32 v5, 0xffff, v6
	s_delay_alu instid0(VALU_DEP_2) | instskip(NEXT) | instid1(VALU_DEP_2)
	v_lshrrev_b16 v71, 3, v4
	v_mul_u32_u24_e32 v4, 0xba2f, v5
	s_delay_alu instid0(VALU_DEP_2) | instskip(NEXT) | instid1(VALU_DEP_2)
	v_mul_lo_u16 v5, v71, 11
	v_lshrrev_b32_e32 v74, 19, v4
	v_mul_lo_u16 v4, v72, 11
	s_delay_alu instid0(VALU_DEP_3) | instskip(NEXT) | instid1(VALU_DEP_3)
	v_sub_nc_u16 v5, v230, v5
	v_mul_lo_u16 v8, v74, 11
	s_delay_alu instid0(VALU_DEP_3) | instskip(NEXT) | instid1(VALU_DEP_3)
	v_sub_nc_u16 v75, v116, v4
	v_and_b32_e32 v81, 0xff, v5
	s_delay_alu instid0(VALU_DEP_3) | instskip(NEXT) | instid1(VALU_DEP_3)
	v_sub_nc_u16 v82, v6, v8
	v_and_b32_e32 v4, 0xffff, v75
	v_and_b32_e32 v5, 0xffff, v80
	s_delay_alu instid0(VALU_DEP_4) | instskip(NEXT) | instid1(VALU_DEP_4)
	v_lshlrev_b32_e32 v6, 4, v81
	v_and_b32_e32 v7, 0xffff, v82
	s_delay_alu instid0(VALU_DEP_4) | instskip(NEXT) | instid1(VALU_DEP_4)
	v_lshlrev_b32_e32 v4, 4, v4
	v_lshlrev_b32_e32 v5, 4, v5
	global_load_b128 v[12:15], v6, s[2:3]
	v_lshlrev_b32_e32 v6, 4, v7
	s_clause 0x2
	global_load_b128 v[16:19], v4, s[2:3]
	global_load_b128 v[8:11], v5, s[2:3]
	;; [unrolled: 1-line block ×3, first 2 shown]
	ds_load_b128 v[24:27], v231 offset:10560
	ds_load_b128 v[28:31], v231 offset:13200
	;; [unrolled: 1-line block ×4, first 2 shown]
	s_wait_loadcnt_dscnt 0x303
	v_mul_f64_e32 v[43:44], v[26:27], v[14:15]
	v_mul_f64_e32 v[45:46], v[24:25], v[14:15]
	s_wait_loadcnt_dscnt 0x202
	v_mul_f64_e32 v[47:48], v[30:31], v[18:19]
	v_mul_f64_e32 v[49:50], v[28:29], v[18:19]
	;; [unrolled: 3-line block ×4, first 2 shown]
	v_fma_f64 v[59:60], v[24:25], v[12:13], -v[43:44]
	v_fma_f64 v[61:62], v[26:27], v[12:13], v[45:46]
	v_fma_f64 v[63:64], v[28:29], v[16:17], -v[47:48]
	v_fma_f64 v[65:66], v[30:31], v[16:17], v[49:50]
	;; [unrolled: 2-line block ×4, first 2 shown]
	ds_load_b128 v[24:27], v231
	ds_load_b128 v[28:31], v231 offset:2640
	ds_load_b128 v[39:42], v231 offset:5280
	ds_load_b128 v[43:46], v231 offset:7920
	global_wb scope:SCOPE_SE
	s_wait_dscnt 0x0
	s_barrier_signal -1
	s_barrier_wait -1
	global_inv scope:SCOPE_SE
	v_add_f64_e64 v[47:48], v[24:25], -v[59:60]
	v_add_f64_e64 v[49:50], v[26:27], -v[61:62]
	;; [unrolled: 1-line block ×8, first 2 shown]
	v_fma_f64 v[59:60], v[24:25], 2.0, -v[47:48]
	v_fma_f64 v[61:62], v[26:27], 2.0, -v[49:50]
	;; [unrolled: 1-line block ×8, first 2 shown]
	v_and_b32_e32 v46, 0xffff, v71
	v_mad_u16 v43, v72, 22, v75
	v_mad_u16 v44, v73, 22, v80
	;; [unrolled: 1-line block ×3, first 2 shown]
	s_delay_alu instid0(VALU_DEP_4) | instskip(NEXT) | instid1(VALU_DEP_4)
	v_mul_u32_u24_e32 v46, 22, v46
	v_and_b32_e32 v43, 0xffff, v43
	s_delay_alu instid0(VALU_DEP_4) | instskip(NEXT) | instid1(VALU_DEP_4)
	v_and_b32_e32 v44, 0xffff, v44
	v_and_b32_e32 v45, 0xffff, v45
	s_delay_alu instid0(VALU_DEP_4) | instskip(NEXT) | instid1(VALU_DEP_4)
	v_add_lshl_u32 v238, v46, v81, 4
	v_lshlrev_b32_e32 v237, 4, v43
	s_delay_alu instid0(VALU_DEP_4) | instskip(NEXT) | instid1(VALU_DEP_4)
	v_lshlrev_b32_e32 v236, 4, v44
	v_lshlrev_b32_e32 v235, 4, v45
	ds_store_b128 v238, v[59:62]
	ds_store_b128 v238, v[47:50] offset:176
	ds_store_b128 v237, v[28:31]
	ds_store_b128 v237, v[51:54] offset:176
	;; [unrolled: 2-line block ×4, first 2 shown]
	global_wb scope:SCOPE_SE
	s_wait_dscnt 0x0
	s_barrier_signal -1
	s_barrier_wait -1
	global_inv scope:SCOPE_SE
	ds_load_b128 v[28:31], v231
	ds_load_b128 v[60:63], v231 offset:2640
	ds_load_b128 v[64:67], v231 offset:7040
	;; [unrolled: 1-line block ×5, first 2 shown]
	s_and_saveexec_b32 s1, s0
	s_cbranch_execz .LBB0_9
; %bb.8:
	ds_load_b128 v[24:27], v231 offset:5280
	ds_load_b128 v[32:35], v231 offset:12320
	;; [unrolled: 1-line block ×3, first 2 shown]
.LBB0_9:
	s_wait_alu 0xfffe
	s_or_b32 exec_lo, exec_lo, s1
	v_lshrrev_b16 v39, 1, v230
	v_lshrrev_b32_e32 v120, 20, v38
	v_lshrrev_b32_e32 v233, 20, v37
	s_mov_b32 s10, 0xe8584caa
	s_mov_b32 s11, 0x3febb67a
	v_and_b32_e32 v38, 0x7f, v39
	v_mul_lo_u16 v39, v120, 22
	s_mov_b32 s15, 0xbfebb67a
	s_wait_alu 0xfffe
	s_mov_b32 s14, s10
	v_mul_lo_u16 v37, 0xbb, v38
	v_mul_lo_u16 v38, v233, 22
	v_sub_nc_u16 v121, v116, v39
	s_delay_alu instid0(VALU_DEP_3) | instskip(NEXT) | instid1(VALU_DEP_3)
	v_lshrrev_b16 v122, 11, v37
	v_sub_nc_u16 v234, v36, v38
	s_delay_alu instid0(VALU_DEP_3) | instskip(NEXT) | instid1(VALU_DEP_3)
	v_lshlrev_b16 v37, 5, v121
	v_mul_lo_u16 v36, v122, 22
	s_delay_alu instid0(VALU_DEP_3) | instskip(NEXT) | instid1(VALU_DEP_3)
	v_lshlrev_b16 v38, 5, v234
	v_and_b32_e32 v37, 0xffff, v37
	s_delay_alu instid0(VALU_DEP_3) | instskip(NEXT) | instid1(VALU_DEP_3)
	v_sub_nc_u16 v36, v230, v36
	v_and_b32_e32 v44, 0xffff, v38
	s_delay_alu instid0(VALU_DEP_3)
	v_add_co_u32 v40, s1, s2, v37
	s_wait_alu 0xf1ff
	v_add_co_ci_u32_e64 v41, null, s3, 0, s1
	v_and_b32_e32 v123, 0xff, v36
	v_add_co_u32 v52, s1, s2, v44
	s_wait_alu 0xf1ff
	v_add_co_ci_u32_e64 v53, null, s3, 0, s1
	s_delay_alu instid0(VALU_DEP_3)
	v_lshlrev_b32_e32 v45, 5, v123
	s_clause 0x5
	global_load_b128 v[36:39], v[40:41], off offset:192
	global_load_b128 v[40:43], v[40:41], off offset:176
	global_load_b128 v[48:51], v45, s[2:3] offset:176
	global_load_b128 v[44:47], v45, s[2:3] offset:192
	global_load_b128 v[56:59], v[52:53], off offset:176
	global_load_b128 v[52:55], v[52:53], off offset:192
	global_wb scope:SCOPE_SE
	s_wait_loadcnt_dscnt 0x0
	s_barrier_signal -1
	s_barrier_wait -1
	global_inv scope:SCOPE_SE
	v_mul_f64_e32 v[86:87], v[82:83], v[38:39]
	v_mul_f64_e32 v[84:85], v[74:75], v[42:43]
	;; [unrolled: 1-line block ×12, first 2 shown]
	v_fma_f64 v[80:81], v[80:81], v[36:37], -v[86:87]
	v_fma_f64 v[72:73], v[72:73], v[40:41], -v[84:85]
	v_fma_f64 v[74:75], v[74:75], v[40:41], v[88:89]
	v_fma_f64 v[82:83], v[82:83], v[36:37], v[90:91]
	v_fma_f64 v[32:33], v[32:33], v[56:57], -v[100:101]
	v_fma_f64 v[84:85], v[20:21], v[52:53], -v[102:103]
	v_fma_f64 v[20:21], v[34:35], v[56:57], v[104:105]
	v_fma_f64 v[34:35], v[22:23], v[52:53], v[106:107]
	v_fma_f64 v[64:65], v[64:65], v[48:49], -v[92:93]
	v_fma_f64 v[68:69], v[68:69], v[44:45], -v[94:95]
	v_fma_f64 v[66:67], v[66:67], v[48:49], v[96:97]
	v_fma_f64 v[70:71], v[70:71], v[44:45], v[98:99]
	v_add_f64_e32 v[22:23], v[72:73], v[80:81]
	v_add_f64_e32 v[96:97], v[60:61], v[72:73]
	;; [unrolled: 1-line block ×3, first 2 shown]
	v_add_f64_e64 v[98:99], v[74:75], -v[82:83]
	v_add_f64_e32 v[92:93], v[32:33], v[84:85]
	v_add_f64_e32 v[74:75], v[62:63], v[74:75]
	;; [unrolled: 1-line block ×9, first 2 shown]
	v_add_f64_e64 v[72:73], v[72:73], -v[80:81]
	v_add_f64_e64 v[110:111], v[20:21], -v[34:35]
	;; [unrolled: 1-line block ×5, first 2 shown]
	v_fma_f64 v[60:61], v[22:23], -0.5, v[60:61]
	v_add_f64_e32 v[20:21], v[96:97], v[80:81]
	v_fma_f64 v[62:63], v[86:87], -0.5, v[62:63]
	v_fma_f64 v[112:113], v[92:93], -0.5, v[24:25]
	v_add_f64_e32 v[22:23], v[74:75], v[82:83]
	v_fma_f64 v[118:119], v[94:95], -0.5, v[26:27]
	;; [unrolled: 3-line block ×3, first 2 shown]
	v_add_f64_e32 v[90:91], v[102:103], v[34:35]
	v_add_f64_e32 v[24:25], v[104:105], v[68:69]
	;; [unrolled: 1-line block ×3, first 2 shown]
	v_fma_f64 v[28:29], v[98:99], s[10:11], v[60:61]
	s_wait_alu 0xfffe
	v_fma_f64 v[80:81], v[98:99], s[14:15], v[60:61]
	v_fma_f64 v[82:83], v[72:73], s[10:11], v[62:63]
	;; [unrolled: 1-line block ×11, first 2 shown]
	v_mad_u16 v64, 0x42, v120, v121
	v_and_b32_e32 v65, 0xffff, v122
	s_delay_alu instid0(VALU_DEP_2) | instskip(NEXT) | instid1(VALU_DEP_2)
	v_and_b32_e32 v64, 0xffff, v64
	v_mul_u32_u24_e32 v65, 0x42, v65
	s_delay_alu instid0(VALU_DEP_2) | instskip(NEXT) | instid1(VALU_DEP_2)
	v_lshlrev_b32_e32 v239, 4, v64
	v_add_lshl_u32 v240, v65, v123, 4
	ds_store_b128 v240, v[24:27]
	ds_store_b128 v240, v[32:35] offset:352
	ds_store_b128 v240, v[60:63] offset:704
	ds_store_b128 v239, v[20:23]
	ds_store_b128 v239, v[28:31] offset:352
	ds_store_b128 v239, v[80:83] offset:704
	s_and_saveexec_b32 s1, s0
	s_cbranch_execz .LBB0_11
; %bb.10:
	v_mad_u16 v20, 0x42, v233, v234
	s_delay_alu instid0(VALU_DEP_1) | instskip(NEXT) | instid1(VALU_DEP_1)
	v_and_b32_e32 v20, 0xffff, v20
	v_lshlrev_b32_e32 v20, 4, v20
	ds_store_b128 v20, v[88:91]
	ds_store_b128 v20, v[92:95] offset:352
	ds_store_b128 v20, v[96:99] offset:704
.LBB0_11:
	s_wait_alu 0xfffe
	s_or_b32 exec_lo, exec_lo, s1
	global_wb scope:SCOPE_SE
	s_wait_dscnt 0x0
	s_barrier_signal -1
	s_barrier_wait -1
	global_inv scope:SCOPE_SE
	ds_load_b128 v[84:87], v231
	ds_load_b128 v[112:115], v231 offset:4224
	ds_load_b128 v[108:111], v231 offset:8448
	;; [unrolled: 1-line block ×4, first 2 shown]
	v_cmp_gt_u16_e64 s1, 0x63, v230
	s_delay_alu instid0(VALU_DEP_1)
	s_and_saveexec_b32 s10, s1
	s_cbranch_execz .LBB0_13
; %bb.12:
	ds_load_b128 v[80:83], v231 offset:2640
	ds_load_b128 v[88:91], v231 offset:6864
	;; [unrolled: 1-line block ×5, first 2 shown]
.LBB0_13:
	s_wait_alu 0xfffe
	s_or_b32 exec_lo, exec_lo, s10
	v_and_b32_e32 v20, 0xff, v230
	v_mul_u32_u24_e32 v21, 0xf83f, v117
	s_mov_b32 s15, 0xbfee6f0e
	s_mov_b32 s17, 0xbfe2cf23
	s_delay_alu instid0(VALU_DEP_2) | instskip(NEXT) | instid1(VALU_DEP_2)
	v_mul_lo_u16 v20, 0xf9, v20
	v_lshrrev_b32_e32 v196, 22, v21
	s_delay_alu instid0(VALU_DEP_2) | instskip(NEXT) | instid1(VALU_DEP_2)
	v_lshrrev_b16 v195, 14, v20
	v_mul_lo_u16 v21, 0x42, v196
	s_delay_alu instid0(VALU_DEP_2) | instskip(NEXT) | instid1(VALU_DEP_2)
	v_mul_lo_u16 v20, 0x42, v195
	v_sub_nc_u16 v197, v116, v21
	s_delay_alu instid0(VALU_DEP_2) | instskip(NEXT) | instid1(VALU_DEP_2)
	v_sub_nc_u16 v20, v230, v20
	v_mad_u16 v241, 0x14a, v196, v197
	s_delay_alu instid0(VALU_DEP_2) | instskip(SKIP_1) | instid1(VALU_DEP_2)
	v_and_b32_e32 v198, 0xff, v20
	v_lshlrev_b16 v20, 6, v197
	v_lshlrev_b32_e32 v21, 6, v198
	s_delay_alu instid0(VALU_DEP_2)
	v_and_b32_e32 v20, 0xffff, v20
	s_clause 0x1
	global_load_b128 v[60:63], v21, s[2:3] offset:896
	global_load_b128 v[72:75], v21, s[2:3] offset:880
	v_add_co_u32 v24, s10, s2, v20
	s_wait_alu 0xf1ff
	v_add_co_ci_u32_e64 v25, null, s3, 0, s10
	s_clause 0x5
	global_load_b128 v[68:71], v21, s[2:3] offset:912
	global_load_b128 v[64:67], v21, s[2:3] offset:928
	global_load_b128 v[20:23], v[24:25], off offset:880
	global_load_b128 v[32:35], v[24:25], off offset:896
	;; [unrolled: 1-line block ×4, first 2 shown]
	s_mov_b32 s10, 0x134454ff
	s_mov_b32 s11, 0x3fee6f0e
	s_wait_alu 0xfffe
	s_mov_b32 s14, s10
	global_wb scope:SCOPE_SE
	s_wait_loadcnt_dscnt 0x0
	s_barrier_signal -1
	s_barrier_wait -1
	global_inv scope:SCOPE_SE
	v_mul_f64_e32 v[120:121], v[110:111], v[62:63]
	v_mul_f64_e32 v[116:117], v[114:115], v[74:75]
	;; [unrolled: 1-line block ×16, first 2 shown]
	v_fma_f64 v[120:121], v[108:109], v[60:61], -v[120:121]
	v_fma_f64 v[149:150], v[112:113], v[72:73], -v[116:117]
	v_fma_f64 v[151:152], v[114:115], v[72:73], v[118:119]
	v_fma_f64 v[122:123], v[110:111], v[60:61], v[122:123]
	v_fma_f64 v[104:105], v[104:105], v[68:69], -v[124:125]
	v_fma_f64 v[106:107], v[106:107], v[68:69], v[126:127]
	v_fma_f64 v[100:101], v[100:101], v[64:65], -v[128:129]
	;; [unrolled: 2-line block ×5, first 2 shown]
	v_fma_f64 v[76:77], v[76:77], v[24:25], -v[142:143]
	v_fma_f64 v[90:91], v[98:99], v[28:29], v[144:145]
	v_fma_f64 v[78:79], v[78:79], v[24:25], v[146:147]
	v_add_f64_e32 v[130:131], v[84:85], v[149:150]
	v_add_f64_e32 v[136:137], v[86:87], v[151:152]
	v_add_f64_e64 v[155:156], v[151:152], -v[122:123]
	v_add_f64_e32 v[96:97], v[120:121], v[104:105]
	v_add_f64_e32 v[114:115], v[122:123], v[106:107]
	v_add_f64_e32 v[98:99], v[149:150], v[100:101]
	v_add_f64_e32 v[116:117], v[151:152], v[102:103]
	v_add_f64_e64 v[132:133], v[151:152], -v[102:103]
	v_add_f64_e64 v[138:139], v[149:150], -v[100:101]
	;; [unrolled: 1-line block ×4, first 2 shown]
	v_add_f64_e32 v[118:119], v[92:93], v[88:89]
	v_add_f64_e32 v[124:125], v[108:109], v[76:77]
	v_add_f64_e32 v[126:127], v[94:95], v[90:91]
	v_add_f64_e32 v[128:129], v[110:111], v[78:79]
	v_add_f64_e64 v[112:113], v[94:95], -v[90:91]
	v_add_f64_e64 v[161:162], v[108:109], -v[92:93]
	;; [unrolled: 1-line block ×12, first 2 shown]
	v_add_f64_e32 v[130:131], v[130:131], v[120:121]
	v_add_f64_e32 v[136:137], v[136:137], v[122:123]
	v_fma_f64 v[142:143], v[96:97], -0.5, v[84:85]
	v_add_f64_e64 v[96:97], v[110:111], -v[78:79]
	v_fma_f64 v[144:145], v[98:99], -0.5, v[84:85]
	v_fma_f64 v[146:147], v[114:115], -0.5, v[86:87]
	v_add_f64_e64 v[98:99], v[108:109], -v[76:77]
	v_fma_f64 v[153:154], v[116:117], -0.5, v[86:87]
	v_add_f64_e64 v[116:117], v[92:93], -v[88:89]
	v_fma_f64 v[84:85], v[118:119], -0.5, v[80:81]
	v_fma_f64 v[86:87], v[124:125], -0.5, v[80:81]
	;; [unrolled: 1-line block ×4, first 2 shown]
	v_add_f64_e64 v[124:125], v[149:150], -v[120:121]
	v_add_f64_e64 v[126:127], v[100:101], -v[104:105]
	;; [unrolled: 1-line block ×4, first 2 shown]
	v_add_f64_e32 v[120:121], v[161:162], v[163:164]
	v_add_f64_e32 v[122:123], v[165:166], v[167:168]
	;; [unrolled: 1-line block ×6, first 2 shown]
	v_fma_f64 v[177:178], v[132:133], s[10:11], v[142:143]
	s_wait_alu 0xfffe
	v_fma_f64 v[142:143], v[132:133], s[14:15], v[142:143]
	v_fma_f64 v[179:180], v[134:135], s[14:15], v[144:145]
	;; [unrolled: 1-line block ×11, first 2 shown]
	s_mov_b32 s14, 0x4755a5e
	s_mov_b32 s15, 0x3fe2cf23
	s_wait_alu 0xfffe
	s_mov_b32 s16, s14
	v_add_f64_e32 v[193:194], v[124:125], v[126:127]
	v_add_f64_e32 v[124:125], v[169:170], v[171:172]
	v_add_f64_e32 v[126:127], v[173:174], v[175:176]
	v_add_f64_e32 v[149:150], v[128:129], v[149:150]
	v_add_f64_e32 v[128:129], v[104:105], v[100:101]
	v_add_f64_e32 v[130:131], v[106:107], v[102:103]
	v_fma_f64 v[136:137], v[134:135], s[14:15], v[177:178]
	s_wait_alu 0xfffe
	v_fma_f64 v[134:135], v[134:135], s[16:17], v[142:143]
	v_fma_f64 v[142:143], v[132:133], s[14:15], v[179:180]
	;; [unrolled: 1-line block ×11, first 2 shown]
	s_mov_b32 s16, 0x372fe950
	s_mov_b32 s17, 0x3fd3c6ef
	s_wait_alu 0xfffe
	v_fma_f64 v[132:133], v[193:194], s[16:17], v[136:137]
	v_fma_f64 v[136:137], v[193:194], s[16:17], v[134:135]
	;; [unrolled: 1-line block ×12, first 2 shown]
	v_and_b32_e32 v149, 0xffff, v195
	s_delay_alu instid0(VALU_DEP_1) | instskip(NEXT) | instid1(VALU_DEP_1)
	v_mul_u32_u24_e32 v149, 0x14a, v149
	v_add_lshl_u32 v242, v149, v198, 4
	ds_store_b128 v242, v[128:131]
	ds_store_b128 v242, v[132:135] offset:1056
	ds_store_b128 v242, v[140:143] offset:2112
	;; [unrolled: 1-line block ×4, first 2 shown]
	s_and_saveexec_b32 s18, s1
	s_cbranch_execz .LBB0_15
; %bb.14:
	v_add_f64_e32 v[82:83], v[82:83], v[110:111]
	v_add_f64_e32 v[80:81], v[80:81], v[108:109]
	v_mul_f64_e32 v[130:131], s[10:11], v[98:99]
	v_mul_f64_e32 v[108:109], s[10:11], v[96:97]
	;; [unrolled: 1-line block ×8, first 2 shown]
	v_add_f64_e32 v[82:83], v[82:83], v[94:95]
	v_add_f64_e32 v[80:81], v[80:81], v[92:93]
	v_add_f64_e64 v[114:115], v[114:115], -v[130:131]
	v_add_f64_e32 v[84:85], v[84:85], v[108:109]
	v_add_f64_e32 v[118:119], v[128:129], v[118:119]
	v_add_f64_e64 v[86:87], v[86:87], -v[110:111]
	v_mul_f64_e32 v[92:93], s[16:17], v[120:121]
	v_mul_f64_e32 v[108:109], s[16:17], v[124:125]
	;; [unrolled: 1-line block ×4, first 2 shown]
	v_add_f64_e32 v[82:83], v[82:83], v[90:91]
	v_add_f64_e32 v[90:91], v[80:81], v[88:89]
	v_add_f64_e64 v[114:115], v[114:115], -v[116:117]
	v_add_f64_e32 v[112:113], v[112:113], v[84:85]
	v_add_f64_e64 v[98:99], v[118:119], -v[98:99]
	v_add_f64_e32 v[96:97], v[96:97], v[86:87]
	v_add_f64_e32 v[88:89], v[82:83], v[78:79]
	;; [unrolled: 1-line block ×7, first 2 shown]
	v_and_b32_e32 v76, 0xffff, v241
	s_delay_alu instid0(VALU_DEP_1)
	v_lshlrev_b32_e32 v76, 4, v76
	ds_store_b128 v76, v[86:89]
	ds_store_b128 v76, v[82:85] offset:1056
	ds_store_b128 v76, v[78:81] offset:2112
	;; [unrolled: 1-line block ×4, first 2 shown]
.LBB0_15:
	s_wait_alu 0xfffe
	s_or_b32 exec_lo, exec_lo, s18
	v_mad_co_u64_u32 v[88:89], null, v230, 48, s[2:3]
	global_wb scope:SCOPE_SE
	s_wait_dscnt 0x0
	s_barrier_signal -1
	s_barrier_wait -1
	global_inv scope:SCOPE_SE
	s_clause 0x5
	global_load_b128 v[84:87], v[88:89], off offset:5104
	global_load_b128 v[80:83], v[88:89], off offset:5120
	;; [unrolled: 1-line block ×6, first 2 shown]
	ds_load_b128 v[108:111], v231 offset:5280
	ds_load_b128 v[112:115], v231 offset:10560
	ds_load_b128 v[116:119], v231 offset:15840
	ds_load_b128 v[120:123], v231 offset:7920
	ds_load_b128 v[124:127], v231 offset:13200
	ds_load_b128 v[128:131], v231 offset:18480
	s_wait_loadcnt_dscnt 0x505
	v_mul_f64_e32 v[132:133], v[110:111], v[86:87]
	v_mul_f64_e32 v[134:135], v[108:109], v[86:87]
	s_wait_loadcnt_dscnt 0x404
	v_mul_f64_e32 v[136:137], v[114:115], v[82:83]
	v_mul_f64_e32 v[138:139], v[112:113], v[82:83]
	;; [unrolled: 3-line block ×6, first 2 shown]
	v_fma_f64 v[132:133], v[108:109], v[84:85], -v[132:133]
	v_fma_f64 v[134:135], v[110:111], v[84:85], v[134:135]
	v_fma_f64 v[136:137], v[112:113], v[80:81], -v[136:137]
	v_fma_f64 v[138:139], v[114:115], v[80:81], v[138:139]
	v_fma_f64 v[116:117], v[116:117], v[76:77], -v[140:141]
	v_fma_f64 v[118:119], v[118:119], v[76:77], v[142:143]
	v_fma_f64 v[120:121], v[120:121], v[96:97], -v[144:145]
	v_fma_f64 v[122:123], v[122:123], v[96:97], v[146:147]
	v_fma_f64 v[124:125], v[124:125], v[92:93], -v[149:150]
	v_fma_f64 v[126:127], v[126:127], v[92:93], v[151:152]
	v_fma_f64 v[128:129], v[128:129], v[88:89], -v[153:154]
	v_fma_f64 v[130:131], v[130:131], v[88:89], v[155:156]
	ds_load_b128 v[108:111], v231
	ds_load_b128 v[112:115], v231 offset:2640
	s_wait_dscnt 0x1
	v_add_f64_e64 v[140:141], v[108:109], -v[136:137]
	v_add_f64_e64 v[142:143], v[110:111], -v[138:139]
	;; [unrolled: 1-line block ×4, first 2 shown]
	s_wait_dscnt 0x0
	v_add_f64_e64 v[124:125], v[112:113], -v[124:125]
	v_add_f64_e64 v[126:127], v[114:115], -v[126:127]
	;; [unrolled: 1-line block ×4, first 2 shown]
	v_fma_f64 v[108:109], v[108:109], 2.0, -v[140:141]
	v_fma_f64 v[110:111], v[110:111], 2.0, -v[142:143]
	;; [unrolled: 1-line block ×4, first 2 shown]
	v_add_f64_e64 v[128:129], v[140:141], -v[118:119]
	v_add_f64_e32 v[130:131], v[142:143], v[116:117]
	v_fma_f64 v[144:145], v[112:113], 2.0, -v[124:125]
	v_fma_f64 v[146:147], v[114:115], 2.0, -v[126:127]
	;; [unrolled: 1-line block ×4, first 2 shown]
	v_add_f64_e64 v[116:117], v[124:125], -v[138:139]
	v_add_f64_e32 v[118:119], v[126:127], v[136:137]
	v_add_f64_e64 v[136:137], v[108:109], -v[132:133]
	v_add_f64_e64 v[138:139], v[110:111], -v[134:135]
	v_fma_f64 v[132:133], v[140:141], 2.0, -v[128:129]
	v_fma_f64 v[134:135], v[142:143], 2.0, -v[130:131]
	v_add_f64_e64 v[120:121], v[144:145], -v[112:113]
	v_add_f64_e64 v[122:123], v[146:147], -v[114:115]
	v_fma_f64 v[124:125], v[124:125], 2.0, -v[116:117]
	v_fma_f64 v[126:127], v[126:127], 2.0, -v[118:119]
	;; [unrolled: 1-line block ×6, first 2 shown]
	ds_store_b128 v231, v[128:131] offset:15840
	ds_store_b128 v231, v[116:119] offset:18480
	;; [unrolled: 1-line block ×6, first 2 shown]
	ds_store_b128 v231, v[112:115]
	ds_store_b128 v231, v[140:143] offset:2640
	global_wb scope:SCOPE_SE
	s_wait_dscnt 0x0
	s_barrier_signal -1
	s_barrier_wait -1
	global_inv scope:SCOPE_SE
	s_and_saveexec_b32 s10, vcc_lo
	s_cbranch_execz .LBB0_17
; %bb.16:
	global_load_b128 v[108:111], v229, s[12:13] offset:21120
	s_add_nc_u64 s[2:3], s[12:13], 0x5280
	s_clause 0x6
	global_load_b128 v[144:147], v229, s[2:3] offset:1920
	global_load_b128 v[149:152], v229, s[2:3] offset:3840
	;; [unrolled: 1-line block ×7, first 2 shown]
	ds_load_b128 v[165:168], v231
	s_wait_loadcnt_dscnt 0x700
	v_mul_f64_e32 v[177:178], v[167:168], v[110:111]
	v_mul_f64_e32 v[110:111], v[165:166], v[110:111]
	s_delay_alu instid0(VALU_DEP_2) | instskip(NEXT) | instid1(VALU_DEP_2)
	v_fma_f64 v[165:166], v[165:166], v[108:109], -v[177:178]
	v_fma_f64 v[167:168], v[167:168], v[108:109], v[110:111]
	ds_store_b128 v231, v[165:168]
	ds_load_b128 v[108:111], v229 offset:1920
	ds_load_b128 v[165:168], v229 offset:3840
	s_wait_loadcnt_dscnt 0x601
	v_mul_f64_e32 v[177:178], v[110:111], v[146:147]
	v_mul_f64_e32 v[146:147], v[108:109], v[146:147]
	s_delay_alu instid0(VALU_DEP_2) | instskip(SKIP_3) | instid1(VALU_DEP_4)
	v_fma_f64 v[108:109], v[108:109], v[144:145], -v[177:178]
	s_wait_loadcnt_dscnt 0x500
	v_mul_f64_e32 v[177:178], v[167:168], v[151:152]
	v_mul_f64_e32 v[151:152], v[165:166], v[151:152]
	v_fma_f64 v[110:111], v[110:111], v[144:145], v[146:147]
	ds_load_b128 v[144:147], v229 offset:5760
	v_fma_f64 v[165:166], v[165:166], v[149:150], -v[177:178]
	v_fma_f64 v[167:168], v[167:168], v[149:150], v[151:152]
	ds_load_b128 v[149:152], v229 offset:7680
	s_wait_loadcnt_dscnt 0x401
	v_mul_f64_e32 v[177:178], v[146:147], v[155:156]
	v_mul_f64_e32 v[155:156], v[144:145], v[155:156]
	s_delay_alu instid0(VALU_DEP_2) | instskip(SKIP_3) | instid1(VALU_DEP_4)
	v_fma_f64 v[144:145], v[144:145], v[153:154], -v[177:178]
	s_wait_loadcnt_dscnt 0x300
	v_mul_f64_e32 v[177:178], v[151:152], v[159:160]
	v_mul_f64_e32 v[159:160], v[149:150], v[159:160]
	v_fma_f64 v[146:147], v[146:147], v[153:154], v[155:156]
	ds_load_b128 v[153:156], v229 offset:9600
	v_fma_f64 v[149:150], v[149:150], v[157:158], -v[177:178]
	v_fma_f64 v[151:152], v[151:152], v[157:158], v[159:160]
	;; [unrolled: 13-line block ×3, first 2 shown]
	ds_load_b128 v[169:172], v229 offset:15360
	s_wait_loadcnt_dscnt 0x1
	v_mul_f64_e32 v[177:178], v[163:164], v[175:176]
	v_mul_f64_e32 v[175:176], v[161:162], v[175:176]
	s_delay_alu instid0(VALU_DEP_2) | instskip(NEXT) | instid1(VALU_DEP_2)
	v_fma_f64 v[161:162], v[161:162], v[173:174], -v[177:178]
	v_fma_f64 v[163:164], v[163:164], v[173:174], v[175:176]
	s_clause 0x1
	global_load_b128 v[173:176], v229, s[2:3] offset:15360
	global_load_b128 v[177:180], v229, s[2:3] offset:17280
	s_wait_loadcnt_dscnt 0x100
	v_mul_f64_e32 v[181:182], v[171:172], v[175:176]
	v_mul_f64_e32 v[175:176], v[169:170], v[175:176]
	s_delay_alu instid0(VALU_DEP_2) | instskip(NEXT) | instid1(VALU_DEP_2)
	v_fma_f64 v[169:170], v[169:170], v[173:174], -v[181:182]
	v_fma_f64 v[171:172], v[171:172], v[173:174], v[175:176]
	ds_load_b128 v[173:176], v229 offset:17280
	ds_load_b128 v[181:184], v229 offset:19200
	s_wait_loadcnt_dscnt 0x1
	v_mul_f64_e32 v[185:186], v[175:176], v[179:180]
	v_mul_f64_e32 v[179:180], v[173:174], v[179:180]
	s_delay_alu instid0(VALU_DEP_2) | instskip(NEXT) | instid1(VALU_DEP_2)
	v_fma_f64 v[173:174], v[173:174], v[177:178], -v[185:186]
	v_fma_f64 v[175:176], v[175:176], v[177:178], v[179:180]
	global_load_b128 v[177:180], v229, s[2:3] offset:19200
	s_wait_loadcnt_dscnt 0x0
	v_mul_f64_e32 v[185:186], v[183:184], v[179:180]
	v_mul_f64_e32 v[187:188], v[181:182], v[179:180]
	s_delay_alu instid0(VALU_DEP_2) | instskip(NEXT) | instid1(VALU_DEP_2)
	v_fma_f64 v[179:180], v[181:182], v[177:178], -v[185:186]
	v_fma_f64 v[181:182], v[183:184], v[177:178], v[187:188]
	ds_store_b128 v229, v[108:111] offset:1920
	ds_store_b128 v229, v[165:168] offset:3840
	;; [unrolled: 1-line block ×10, first 2 shown]
.LBB0_17:
	s_wait_alu 0xfffe
	s_or_b32 exec_lo, exec_lo, s10
	global_wb scope:SCOPE_SE
	s_wait_dscnt 0x0
	s_barrier_signal -1
	s_barrier_wait -1
	global_inv scope:SCOPE_SE
	s_and_saveexec_b32 s2, vcc_lo
	s_cbranch_execz .LBB0_19
; %bb.18:
	ds_load_b128 v[112:115], v231
	ds_load_b128 v[132:135], v231 offset:1920
	ds_load_b128 v[136:139], v231 offset:3840
	;; [unrolled: 1-line block ×10, first 2 shown]
.LBB0_19:
	s_wait_alu 0xfffe
	s_or_b32 exec_lo, exec_lo, s2
	s_wait_dscnt 0x0
	v_add_f64_e64 v[169:170], v[134:135], -v[2:3]
	s_mov_b32 s14, 0x8eee2c13
	s_mov_b32 s15, 0xbfed1bb4
	v_add_f64_e32 v[163:164], v[0:1], v[132:133]
	v_add_f64_e64 v[151:152], v[138:139], -v[102:103]
	s_mov_b32 s2, 0xd9c712b6
	s_mov_b32 s16, 0xbb3a28a1
	;; [unrolled: 1-line block ×4, first 2 shown]
	v_add_f64_e32 v[149:150], v[100:101], v[136:137]
	v_add_f64_e32 v[203:204], v[2:3], v[134:135]
	s_mov_b32 s10, 0x7f775887
	s_mov_b32 s11, 0xbfe4f49e
	v_add_f64_e64 v[205:206], v[132:133], -v[0:1]
	v_add_f64_e32 v[153:154], v[102:103], v[138:139]
	v_add_f64_e64 v[167:168], v[136:137], -v[100:101]
	v_add_f64_e64 v[165:166], v[130:131], -v[106:107]
	s_mov_b32 s23, 0x3fd207e7
	s_mov_b32 s22, 0xfd768dbf
	v_add_f64_e32 v[155:156], v[128:129], v[104:105]
	v_add_f64_e32 v[157:158], v[130:131], v[106:107]
	s_mov_b32 s18, 0x9bcd5057
	s_mov_b32 s19, 0xbfeeb42a
	v_add_f64_e64 v[181:182], v[128:129], -v[104:105]
	v_add_f64_e64 v[179:180], v[142:143], -v[118:119]
	s_mov_b32 s24, 0x43842ef
	s_mov_b32 s25, 0xbfefac9e
	;; [unrolled: 1-line block ×3, first 2 shown]
	s_wait_alu 0xfffe
	s_mov_b32 s34, s24
	v_add_f64_e32 v[161:162], v[140:141], v[116:117]
	v_add_f64_e32 v[171:172], v[142:143], v[118:119]
	s_mov_b32 s20, 0x640f44db
	s_mov_b32 s21, 0xbfc2375f
	v_add_f64_e64 v[183:184], v[140:141], -v[116:117]
	v_add_f64_e64 v[185:186], v[126:127], -v[122:123]
	s_mov_b32 s36, 0xf8bb580b
	s_mov_b32 s37, 0xbfe14ced
	;; [unrolled: 1-line block ×3, first 2 shown]
	v_mul_f64_e32 v[175:176], s[14:15], v[169:170]
	s_wait_alu 0xfffe
	s_mov_b32 s28, s36
	v_add_f64_e32 v[173:174], v[120:121], v[124:125]
	v_add_f64_e32 v[177:178], v[122:123], v[126:127]
	v_mul_f64_e32 v[159:160], s[16:17], v[151:152]
	s_mov_b32 s26, 0x8764f0ba
	s_mov_b32 s27, 0x3feaeb8c
	v_add_f64_e64 v[191:192], v[124:125], -v[120:121]
	v_mul_f64_e32 v[225:226], s[24:25], v[169:170]
	v_mul_f64_e32 v[207:208], s[22:23], v[151:152]
	;; [unrolled: 1-line block ×4, first 2 shown]
	s_mov_b32 s31, 0x3fed1bb4
	s_mov_b32 s30, s14
	v_mul_f64_e32 v[187:188], s[10:11], v[153:154]
	v_mul_f64_e32 v[215:216], s[18:19], v[153:154]
	v_mul_f64_e32 v[189:190], s[22:23], v[165:166]
	global_wb scope:SCOPE_SE
	s_barrier_signal -1
	s_barrier_wait -1
	v_mul_f64_e32 v[193:194], s[18:19], v[157:158]
	v_mul_f64_e32 v[219:220], s[2:3], v[157:158]
	global_inv scope:SCOPE_SE
	v_mul_f64_e32 v[195:196], s[34:35], v[179:180]
	v_mul_f64_e32 v[217:218], s[36:37], v[179:180]
	;; [unrolled: 1-line block ×3, first 2 shown]
	s_wait_alu 0xfffe
	v_mul_f64_e32 v[221:222], s[26:27], v[171:172]
	v_mul_f64_e32 v[197:198], s[28:29], v[185:186]
	v_fma_f64 v[108:109], v[163:164], s[2:3], -v[175:176]
	v_mul_f64_e32 v[201:202], s[26:27], v[177:178]
	v_fma_f64 v[110:111], v[149:150], s[10:11], -v[159:160]
	v_fma_f64 v[146:147], v[149:150], s[18:19], -v[207:208]
	v_fma_f64 v[144:145], v[167:168], s[16:17], v[187:188]
	v_fma_f64 v[211:212], v[167:168], s[22:23], v[215:216]
	v_add_f64_e32 v[108:109], v[112:113], v[108:109]
	s_delay_alu instid0(VALU_DEP_1) | instskip(SKIP_1) | instid1(VALU_DEP_1)
	v_add_f64_e32 v[108:109], v[110:111], v[108:109]
	v_fma_f64 v[110:111], v[205:206], s[14:15], v[209:210]
	v_add_f64_e32 v[110:111], v[114:115], v[110:111]
	s_delay_alu instid0(VALU_DEP_1) | instskip(SKIP_1) | instid1(VALU_DEP_1)
	v_add_f64_e32 v[110:111], v[144:145], v[110:111]
	v_fma_f64 v[144:145], v[155:156], s[18:19], -v[189:190]
	v_add_f64_e32 v[108:109], v[144:145], v[108:109]
	v_fma_f64 v[144:145], v[181:182], s[22:23], v[193:194]
	s_delay_alu instid0(VALU_DEP_1) | instskip(SKIP_1) | instid1(VALU_DEP_1)
	v_add_f64_e32 v[110:111], v[144:145], v[110:111]
	v_fma_f64 v[144:145], v[161:162], s[20:21], -v[195:196]
	v_add_f64_e32 v[108:109], v[144:145], v[108:109]
	v_fma_f64 v[144:145], v[183:184], s[34:35], v[199:200]
	;; [unrolled: 5-line block ×3, first 2 shown]
	s_delay_alu instid0(VALU_DEP_1) | instskip(SKIP_1) | instid1(VALU_DEP_1)
	v_add_f64_e32 v[110:111], v[144:145], v[110:111]
	v_fma_f64 v[144:145], v[163:164], s[20:21], -v[225:226]
	v_add_f64_e32 v[144:145], v[112:113], v[144:145]
	s_delay_alu instid0(VALU_DEP_1) | instskip(SKIP_1) | instid1(VALU_DEP_1)
	v_add_f64_e32 v[144:145], v[146:147], v[144:145]
	v_fma_f64 v[146:147], v[205:206], s[24:25], v[227:228]
	v_add_f64_e32 v[146:147], v[114:115], v[146:147]
	s_delay_alu instid0(VALU_DEP_1) | instskip(SKIP_1) | instid1(VALU_DEP_1)
	v_add_f64_e32 v[146:147], v[211:212], v[146:147]
	v_mul_f64_e32 v[211:212], s[30:31], v[165:166]
	v_fma_f64 v[213:214], v[155:156], s[2:3], -v[211:212]
	s_delay_alu instid0(VALU_DEP_1) | instskip(SKIP_1) | instid1(VALU_DEP_1)
	v_add_f64_e32 v[144:145], v[213:214], v[144:145]
	v_fma_f64 v[213:214], v[181:182], s[30:31], v[219:220]
	v_add_f64_e32 v[146:147], v[213:214], v[146:147]
	v_fma_f64 v[213:214], v[161:162], s[26:27], -v[217:218]
	s_delay_alu instid0(VALU_DEP_1) | instskip(SKIP_1) | instid1(VALU_DEP_1)
	v_add_f64_e32 v[144:145], v[213:214], v[144:145]
	v_fma_f64 v[213:214], v[183:184], s[36:37], v[221:222]
	v_add_f64_e32 v[146:147], v[213:214], v[146:147]
	v_mul_f64_e32 v[213:214], s[16:17], v[185:186]
	s_delay_alu instid0(VALU_DEP_1) | instskip(NEXT) | instid1(VALU_DEP_1)
	v_fma_f64 v[223:224], v[173:174], s[10:11], -v[213:214]
	v_add_f64_e32 v[144:145], v[223:224], v[144:145]
	v_mul_f64_e32 v[223:224], s[10:11], v[177:178]
	s_delay_alu instid0(VALU_DEP_1) | instskip(NEXT) | instid1(VALU_DEP_1)
	v_fma_f64 v[243:244], v[191:192], s[16:17], v[223:224]
	v_add_f64_e32 v[146:147], v[243:244], v[146:147]
	s_and_saveexec_b32 s33, vcc_lo
	s_cbranch_execz .LBB0_21
; %bb.20:
	v_add_f64_e32 v[134:135], v[114:115], v[134:135]
	v_add_f64_e32 v[132:133], v[112:113], v[132:133]
	s_delay_alu instid0(VALU_DEP_2) | instskip(NEXT) | instid1(VALU_DEP_2)
	v_add_f64_e32 v[134:135], v[138:139], v[134:135]
	v_add_f64_e32 v[132:133], v[136:137], v[132:133]
	s_delay_alu instid0(VALU_DEP_2) | instskip(NEXT) | instid1(VALU_DEP_2)
	v_add_f64_e32 v[130:131], v[130:131], v[134:135]
	v_add_f64_e32 v[128:129], v[128:129], v[132:133]
	v_mul_f64_e32 v[132:133], s[16:17], v[169:170]
	v_mul_f64_e32 v[134:135], s[36:37], v[169:170]
	s_delay_alu instid0(VALU_DEP_4) | instskip(NEXT) | instid1(VALU_DEP_4)
	v_add_f64_e32 v[130:131], v[142:143], v[130:131]
	v_add_f64_e32 v[128:129], v[140:141], v[128:129]
	s_delay_alu instid0(VALU_DEP_4)
	v_fma_f64 v[138:139], v[163:164], s[10:11], -v[132:133]
	v_fma_f64 v[132:133], v[163:164], s[10:11], v[132:133]
	v_fma_f64 v[140:141], v[163:164], s[26:27], v[134:135]
	v_fma_f64 v[134:135], v[163:164], s[26:27], -v[134:135]
	v_add_f64_e32 v[126:127], v[126:127], v[130:131]
	v_add_f64_e32 v[124:125], v[124:125], v[128:129]
	;; [unrolled: 1-line block ×7, first 2 shown]
	s_delay_alu instid0(VALU_DEP_2) | instskip(NEXT) | instid1(VALU_DEP_2)
	v_add_f64_e32 v[118:119], v[118:119], v[122:123]
	v_add_f64_e32 v[116:117], v[116:117], v[120:121]
	v_mul_f64_e32 v[120:121], s[16:17], v[205:206]
	v_mul_f64_e32 v[122:123], s[36:37], v[205:206]
	s_delay_alu instid0(VALU_DEP_4) | instskip(NEXT) | instid1(VALU_DEP_4)
	v_add_f64_e32 v[106:107], v[106:107], v[118:119]
	v_add_f64_e32 v[104:105], v[104:105], v[116:117]
	v_mul_f64_e32 v[116:117], s[22:23], v[167:168]
	v_mul_f64_e32 v[118:119], s[22:23], v[181:182]
	s_mov_b32 s23, 0xbfd207e7
	v_fma_f64 v[126:127], v[203:204], s[10:11], v[120:121]
	s_wait_alu 0xfffe
	v_mul_f64_e32 v[136:137], s[22:23], v[169:170]
	v_mul_f64_e32 v[124:125], s[22:23], v[205:206]
	v_fma_f64 v[128:129], v[203:204], s[26:27], v[122:123]
	v_fma_f64 v[120:121], v[203:204], s[10:11], -v[120:121]
	v_fma_f64 v[122:123], v[203:204], s[26:27], -v[122:123]
	v_add_f64_e32 v[102:103], v[102:103], v[106:107]
	v_add_f64_e32 v[100:101], v[100:101], v[104:105]
	v_mul_f64_e32 v[104:105], s[14:15], v[205:206]
	v_mul_f64_e32 v[106:107], s[2:3], v[163:164]
	v_add_f64_e64 v[118:119], v[193:194], -v[118:119]
	v_add_f64_e32 v[126:127], v[114:115], v[126:127]
	v_fma_f64 v[142:143], v[163:164], s[18:19], v[136:137]
	v_fma_f64 v[136:137], v[163:164], s[18:19], -v[136:137]
	v_fma_f64 v[130:131], v[203:204], s[18:19], v[124:125]
	v_fma_f64 v[124:125], v[203:204], s[18:19], -v[124:125]
	v_add_f64_e32 v[120:121], v[114:115], v[120:121]
	v_add_f64_e32 v[122:123], v[114:115], v[122:123]
	v_add_f64_e32 v[2:3], v[2:3], v[102:103]
	v_add_f64_e32 v[0:1], v[0:1], v[100:101]
	v_mul_f64_e32 v[100:101], s[24:25], v[205:206]
	v_mul_f64_e32 v[102:103], s[20:21], v[163:164]
	v_add_f64_e64 v[104:105], v[209:210], -v[104:105]
	v_add_f64_e32 v[106:107], v[106:107], v[175:176]
	v_add_f64_e32 v[205:206], v[114:115], v[128:129]
	;; [unrolled: 1-line block ×7, first 2 shown]
	v_mul_f64_e32 v[209:210], s[30:31], v[191:192]
	v_add_f64_e64 v[100:101], v[227:228], -v[100:101]
	v_add_f64_e32 v[102:103], v[102:103], v[225:226]
	v_add_f64_e32 v[175:176], v[114:115], v[104:105]
	v_mul_f64_e32 v[104:105], s[34:35], v[167:168]
	v_add_f64_e32 v[203:204], v[112:113], v[106:107]
	v_mul_f64_e32 v[106:107], s[34:35], v[151:152]
	v_mul_f64_e32 v[225:226], s[30:31], v[185:186]
	v_add_f64_e32 v[163:164], v[114:115], v[100:101]
	v_add_f64_e32 v[169:170], v[112:113], v[102:103]
	v_mul_f64_e32 v[112:113], s[36:37], v[181:182]
	v_fma_f64 v[100:101], v[153:154], s[20:21], v[104:105]
	v_fma_f64 v[104:105], v[153:154], s[20:21], -v[104:105]
	v_fma_f64 v[102:103], v[149:150], s[20:21], -v[106:107]
	v_fma_f64 v[106:107], v[149:150], s[20:21], v[106:107]
	v_fma_f64 v[114:115], v[157:158], s[26:27], v[112:113]
	v_add_f64_e32 v[100:101], v[100:101], v[126:127]
	v_add_f64_e32 v[104:105], v[104:105], v[120:121]
	;; [unrolled: 1-line block ×3, first 2 shown]
	v_fma_f64 v[112:113], v[157:158], s[26:27], -v[112:113]
	v_add_f64_e32 v[106:107], v[106:107], v[132:133]
	v_mul_f64_e32 v[120:121], s[2:3], v[155:156]
	v_mul_f64_e32 v[132:133], s[26:27], v[161:162]
	v_add_f64_e32 v[100:101], v[114:115], v[100:101]
	v_mul_f64_e32 v[114:115], s[36:37], v[165:166]
	v_add_f64_e32 v[104:105], v[112:113], v[104:105]
	v_add_f64_e32 v[120:121], v[120:121], v[211:212]
	v_add_f64_e32 v[132:133], v[132:133], v[217:218]
	s_delay_alu instid0(VALU_DEP_4) | instskip(SKIP_2) | instid1(VALU_DEP_3)
	v_fma_f64 v[126:127], v[155:156], s[26:27], -v[114:115]
	v_fma_f64 v[112:113], v[155:156], s[26:27], v[114:115]
	v_fma_f64 v[114:115], v[173:174], s[2:3], v[225:226]
	v_add_f64_e32 v[102:103], v[126:127], v[102:103]
	v_mul_f64_e32 v[126:127], s[22:23], v[183:184]
	s_delay_alu instid0(VALU_DEP_4) | instskip(NEXT) | instid1(VALU_DEP_2)
	v_add_f64_e32 v[106:107], v[112:113], v[106:107]
	v_fma_f64 v[138:139], v[171:172], s[18:19], v[126:127]
	v_fma_f64 v[112:113], v[171:172], s[18:19], -v[126:127]
	v_mul_f64_e32 v[126:127], s[36:37], v[183:184]
	s_delay_alu instid0(VALU_DEP_3) | instskip(SKIP_1) | instid1(VALU_DEP_4)
	v_add_f64_e32 v[100:101], v[138:139], v[100:101]
	v_mul_f64_e32 v[138:139], s[22:23], v[179:180]
	v_add_f64_e32 v[104:105], v[112:113], v[104:105]
	s_delay_alu instid0(VALU_DEP_4) | instskip(NEXT) | instid1(VALU_DEP_3)
	v_add_f64_e64 v[126:127], v[221:222], -v[126:127]
	v_fma_f64 v[112:113], v[161:162], s[18:19], v[138:139]
	v_fma_f64 v[142:143], v[161:162], s[18:19], -v[138:139]
	v_mul_f64_e32 v[138:139], s[16:17], v[191:192]
	s_delay_alu instid0(VALU_DEP_3) | instskip(SKIP_1) | instid1(VALU_DEP_3)
	v_add_f64_e32 v[112:113], v[112:113], v[106:107]
	v_fma_f64 v[106:107], v[177:178], s[2:3], -v[209:210]
	v_add_f64_e64 v[138:139], v[223:224], -v[138:139]
	v_add_f64_e32 v[142:143], v[142:143], v[102:103]
	v_fma_f64 v[102:103], v[177:178], s[2:3], v[209:210]
	s_delay_alu instid0(VALU_DEP_4)
	v_add_f64_e32 v[106:107], v[106:107], v[104:105]
	v_add_f64_e32 v[104:105], v[114:115], v[112:113]
	v_mul_f64_e32 v[114:115], s[18:19], v[149:150]
	v_add_f64_e64 v[112:113], v[215:216], -v[116:117]
	v_mul_f64_e32 v[116:117], s[30:31], v[181:182]
	v_add_f64_e32 v[102:103], v[102:103], v[100:101]
	v_fma_f64 v[100:101], v[173:174], s[2:3], -v[225:226]
	v_add_f64_e32 v[114:115], v[114:115], v[207:208]
	v_add_f64_e32 v[112:113], v[112:113], v[163:164]
	v_add_f64_e64 v[116:117], v[219:220], -v[116:117]
	v_mul_f64_e32 v[163:164], s[16:17], v[183:184]
	v_add_f64_e32 v[100:101], v[100:101], v[142:143]
	v_mul_f64_e32 v[142:143], s[28:29], v[191:192]
	v_add_f64_e32 v[114:115], v[114:115], v[169:170]
	;; [unrolled: 2-line block ×3, first 2 shown]
	v_mul_f64_e32 v[116:117], s[10:11], v[173:174]
	v_mul_f64_e32 v[179:180], s[30:31], v[179:180]
	v_add_f64_e64 v[142:143], v[201:202], -v[142:143]
	v_add_f64_e32 v[114:115], v[120:121], v[114:115]
	v_add_f64_e32 v[112:113], v[126:127], v[112:113]
	;; [unrolled: 1-line block ×3, first 2 shown]
	v_mul_f64_e32 v[126:127], s[18:19], v[155:156]
	s_delay_alu instid0(VALU_DEP_4)
	v_add_f64_e32 v[120:121], v[132:133], v[114:115]
	v_mul_f64_e32 v[132:133], s[34:35], v[183:184]
	v_add_f64_e32 v[114:115], v[138:139], v[112:113]
	v_mul_f64_e32 v[138:139], s[20:21], v[161:162]
	v_add_f64_e32 v[126:127], v[126:127], v[189:190]
	v_add_f64_e32 v[112:113], v[116:117], v[120:121]
	v_mul_f64_e32 v[116:117], s[16:17], v[167:168]
	v_mul_f64_e32 v[120:121], s[10:11], v[149:150]
	v_add_f64_e64 v[132:133], v[199:200], -v[132:133]
	v_add_f64_e32 v[138:139], v[138:139], v[195:196]
	s_delay_alu instid0(VALU_DEP_4) | instskip(NEXT) | instid1(VALU_DEP_4)
	v_add_f64_e64 v[116:117], v[187:188], -v[116:117]
	v_add_f64_e32 v[120:121], v[120:121], v[159:160]
	v_mul_f64_e32 v[159:160], s[24:25], v[165:166]
	v_mul_f64_e32 v[187:188], s[22:23], v[185:186]
	;; [unrolled: 1-line block ×4, first 2 shown]
	v_add_f64_e32 v[116:117], v[116:117], v[175:176]
	v_add_f64_e32 v[120:121], v[120:121], v[203:204]
	v_mul_f64_e32 v[175:176], s[22:23], v[191:192]
	s_delay_alu instid0(VALU_DEP_3) | instskip(NEXT) | instid1(VALU_DEP_3)
	v_add_f64_e32 v[116:117], v[118:119], v[116:117]
	v_add_f64_e32 v[118:119], v[126:127], v[120:121]
	v_mul_f64_e32 v[120:121], s[26:27], v[173:174]
	s_delay_alu instid0(VALU_DEP_3) | instskip(NEXT) | instid1(VALU_DEP_3)
	v_add_f64_e32 v[116:117], v[132:133], v[116:117]
	v_add_f64_e32 v[126:127], v[138:139], v[118:119]
	s_delay_alu instid0(VALU_DEP_3)
	v_add_f64_e32 v[120:121], v[120:121], v[197:198]
	v_mul_f64_e32 v[132:133], s[14:15], v[167:168]
	v_mul_f64_e32 v[138:139], s[14:15], v[151:152]
	;; [unrolled: 1-line block ×3, first 2 shown]
	v_add_f64_e32 v[118:119], v[142:143], v[116:117]
	v_mul_f64_e32 v[142:143], s[24:25], v[181:182]
	v_add_f64_e32 v[116:117], v[120:121], v[126:127]
	v_fma_f64 v[120:121], v[153:154], s[2:3], -v[132:133]
	v_fma_f64 v[132:133], v[153:154], s[2:3], v[132:133]
	s_delay_alu instid0(VALU_DEP_4) | instskip(NEXT) | instid1(VALU_DEP_3)
	v_fma_f64 v[126:127], v[157:158], s[20:21], -v[142:143]
	v_add_f64_e32 v[120:121], v[120:121], v[122:123]
	v_fma_f64 v[122:123], v[149:150], s[2:3], v[138:139]
	s_delay_alu instid0(VALU_DEP_4) | instskip(NEXT) | instid1(VALU_DEP_3)
	v_add_f64_e32 v[132:133], v[132:133], v[205:206]
	v_add_f64_e32 v[120:121], v[126:127], v[120:121]
	s_delay_alu instid0(VALU_DEP_3) | instskip(SKIP_2) | instid1(VALU_DEP_2)
	v_add_f64_e32 v[122:123], v[122:123], v[128:129]
	v_fma_f64 v[126:127], v[155:156], s[20:21], v[159:160]
	v_mul_f64_e32 v[128:129], s[28:29], v[167:168]
	v_add_f64_e32 v[122:123], v[126:127], v[122:123]
	v_fma_f64 v[126:127], v[171:172], s[10:11], -v[163:164]
	s_delay_alu instid0(VALU_DEP_1) | instskip(SKIP_1) | instid1(VALU_DEP_1)
	v_add_f64_e32 v[120:121], v[126:127], v[120:121]
	v_fma_f64 v[126:127], v[161:162], s[10:11], v[169:170]
	v_add_f64_e32 v[126:127], v[126:127], v[122:123]
	v_fma_f64 v[122:123], v[177:178], s[18:19], -v[175:176]
	s_delay_alu instid0(VALU_DEP_1) | instskip(SKIP_1) | instid1(VALU_DEP_1)
	v_add_f64_e32 v[122:123], v[122:123], v[120:121]
	v_fma_f64 v[120:121], v[173:174], s[18:19], v[187:188]
	v_add_f64_e32 v[120:121], v[120:121], v[126:127]
	v_fma_f64 v[126:127], v[153:154], s[26:27], -v[128:129]
	v_fma_f64 v[128:129], v[153:154], s[26:27], v[128:129]
	s_delay_alu instid0(VALU_DEP_2) | instskip(SKIP_1) | instid1(VALU_DEP_3)
	v_add_f64_e32 v[124:125], v[126:127], v[124:125]
	v_fma_f64 v[126:127], v[149:150], s[26:27], v[151:152]
	v_add_f64_e32 v[128:129], v[128:129], v[130:131]
	v_fma_f64 v[130:131], v[149:150], s[26:27], -v[151:152]
	s_delay_alu instid0(VALU_DEP_3) | instskip(SKIP_1) | instid1(VALU_DEP_3)
	v_add_f64_e32 v[126:127], v[126:127], v[140:141]
	v_mul_f64_e32 v[140:141], s[16:17], v[181:182]
	v_add_f64_e32 v[130:131], v[130:131], v[136:137]
	s_delay_alu instid0(VALU_DEP_2) | instskip(SKIP_2) | instid1(VALU_DEP_3)
	v_fma_f64 v[167:168], v[157:158], s[10:11], -v[140:141]
	v_fma_f64 v[136:137], v[157:158], s[10:11], v[140:141]
	v_fma_f64 v[140:141], v[173:174], s[20:21], -v[185:186]
	v_add_f64_e32 v[124:125], v[167:168], v[124:125]
	v_fma_f64 v[167:168], v[155:156], s[10:11], v[165:166]
	s_delay_alu instid0(VALU_DEP_4) | instskip(SKIP_1) | instid1(VALU_DEP_3)
	v_add_f64_e32 v[128:129], v[136:137], v[128:129]
	v_fma_f64 v[136:137], v[155:156], s[10:11], -v[165:166]
	v_add_f64_e32 v[126:127], v[167:168], v[126:127]
	v_mul_f64_e32 v[167:168], s[30:31], v[183:184]
	s_delay_alu instid0(VALU_DEP_3) | instskip(SKIP_1) | instid1(VALU_DEP_3)
	v_add_f64_e32 v[130:131], v[136:137], v[130:131]
	v_mul_f64_e32 v[183:184], s[24:25], v[191:192]
	v_fma_f64 v[136:137], v[171:172], s[2:3], v[167:168]
	v_fma_f64 v[181:182], v[171:172], s[2:3], -v[167:168]
	s_delay_alu instid0(VALU_DEP_2) | instskip(SKIP_1) | instid1(VALU_DEP_3)
	v_add_f64_e32 v[128:129], v[136:137], v[128:129]
	v_fma_f64 v[136:137], v[161:162], s[2:3], -v[179:180]
	v_add_f64_e32 v[124:125], v[181:182], v[124:125]
	v_fma_f64 v[181:182], v[161:162], s[2:3], v[179:180]
	s_delay_alu instid0(VALU_DEP_3) | instskip(SKIP_1) | instid1(VALU_DEP_3)
	v_add_f64_e32 v[136:137], v[136:137], v[130:131]
	v_fma_f64 v[130:131], v[177:178], s[20:21], v[183:184]
	v_add_f64_e32 v[181:182], v[181:182], v[126:127]
	v_fma_f64 v[126:127], v[177:178], s[20:21], -v[183:184]
	s_delay_alu instid0(VALU_DEP_3)
	v_add_f64_e32 v[130:131], v[130:131], v[128:129]
	v_add_f64_e32 v[128:129], v[140:141], v[136:137]
	v_fma_f64 v[136:137], v[149:150], s[2:3], -v[138:139]
	v_fma_f64 v[138:139], v[157:158], s[20:21], v[142:143]
	v_fma_f64 v[140:141], v[155:156], s[20:21], -v[159:160]
	v_fma_f64 v[142:143], v[161:162], s[10:11], -v[169:170]
	v_add_f64_e32 v[126:127], v[126:127], v[124:125]
	v_fma_f64 v[124:125], v[173:174], s[20:21], v[185:186]
	v_add_f64_e32 v[134:135], v[136:137], v[134:135]
	v_fma_f64 v[136:137], v[171:172], s[10:11], v[163:164]
	;; [unrolled: 2-line block ×3, first 2 shown]
	v_add_f64_e32 v[124:125], v[124:125], v[181:182]
	v_add_f64_e32 v[134:135], v[140:141], v[134:135]
	v_fma_f64 v[140:141], v[173:174], s[18:19], -v[187:188]
	v_add_f64_e32 v[132:133], v[136:137], v[132:133]
	s_delay_alu instid0(VALU_DEP_3) | instskip(NEXT) | instid1(VALU_DEP_2)
	v_add_f64_e32 v[136:137], v[142:143], v[134:135]
	v_add_f64_e32 v[134:135], v[138:139], v[132:133]
	s_delay_alu instid0(VALU_DEP_2) | instskip(SKIP_1) | instid1(VALU_DEP_1)
	v_add_f64_e32 v[132:133], v[140:141], v[136:137]
	v_and_b32_e32 v136, 0xffff, v232
	v_lshlrev_b32_e32 v136, 4, v136
	ds_store_b128 v136, v[116:119] offset:32
	ds_store_b128 v136, v[144:147] offset:128
	;; [unrolled: 1-line block ×9, first 2 shown]
	ds_store_b128 v136, v[0:3]
	ds_store_b128 v136, v[132:135] offset:160
.LBB0_21:
	s_or_b32 exec_lo, exec_lo, s33
	global_wb scope:SCOPE_SE
	s_wait_dscnt 0x0
	s_barrier_signal -1
	s_barrier_wait -1
	global_inv scope:SCOPE_SE
	ds_load_b128 v[0:3], v231 offset:10560
	ds_load_b128 v[100:103], v231 offset:13200
	;; [unrolled: 1-line block ×4, first 2 shown]
	s_wait_dscnt 0x3
	v_mul_f64_e32 v[116:117], v[14:15], v[2:3]
	v_mul_f64_e32 v[14:15], v[14:15], v[0:1]
	s_wait_dscnt 0x2
	v_mul_f64_e32 v[118:119], v[18:19], v[102:103]
	v_mul_f64_e32 v[18:19], v[18:19], v[100:101]
	s_wait_dscnt 0x1
	v_mul_f64_e32 v[120:121], v[10:11], v[106:107]
	v_mul_f64_e32 v[10:11], v[10:11], v[104:105]
	s_wait_dscnt 0x0
	v_mul_f64_e32 v[122:123], v[6:7], v[114:115]
	v_mul_f64_e32 v[6:7], v[6:7], v[112:113]
	v_fma_f64 v[116:117], v[12:13], v[0:1], v[116:117]
	v_fma_f64 v[12:13], v[12:13], v[2:3], -v[14:15]
	v_fma_f64 v[14:15], v[16:17], v[100:101], v[118:119]
	v_fma_f64 v[118:119], v[16:17], v[102:103], -v[18:19]
	;; [unrolled: 2-line block ×4, first 2 shown]
	ds_load_b128 v[0:3], v231
	ds_load_b128 v[4:7], v231 offset:2640
	ds_load_b128 v[8:11], v231 offset:5280
	;; [unrolled: 1-line block ×3, first 2 shown]
	global_wb scope:SCOPE_SE
	s_wait_dscnt 0x0
	s_barrier_signal -1
	s_barrier_wait -1
	global_inv scope:SCOPE_SE
	v_add_f64_e64 v[100:101], v[0:1], -v[116:117]
	v_add_f64_e64 v[102:103], v[2:3], -v[12:13]
	;; [unrolled: 1-line block ×8, first 2 shown]
	v_fma_f64 v[116:117], v[0:1], 2.0, -v[100:101]
	v_fma_f64 v[118:119], v[2:3], 2.0, -v[102:103]
	;; [unrolled: 1-line block ×8, first 2 shown]
	ds_store_b128 v238, v[116:119]
	ds_store_b128 v238, v[100:103] offset:176
	ds_store_b128 v237, v[4:7]
	ds_store_b128 v237, v[104:107] offset:176
	;; [unrolled: 2-line block ×4, first 2 shown]
	global_wb scope:SCOPE_SE
	s_wait_dscnt 0x0
	s_barrier_signal -1
	s_barrier_wait -1
	global_inv scope:SCOPE_SE
	ds_load_b128 v[8:11], v231
	ds_load_b128 v[4:7], v231 offset:2640
	ds_load_b128 v[104:107], v231 offset:7040
	;; [unrolled: 1-line block ×5, first 2 shown]
	s_and_saveexec_b32 s2, s0
	s_cbranch_execz .LBB0_23
; %bb.22:
	ds_load_b128 v[0:3], v231 offset:5280
	ds_load_b128 v[12:15], v231 offset:12320
	;; [unrolled: 1-line block ×3, first 2 shown]
.LBB0_23:
	s_wait_alu 0xfffe
	s_or_b32 exec_lo, exec_lo, s2
	s_wait_dscnt 0x3
	v_mul_f64_e32 v[116:117], v[50:51], v[106:107]
	s_wait_dscnt 0x1
	v_mul_f64_e32 v[118:119], v[46:47], v[114:115]
	v_mul_f64_e32 v[50:51], v[50:51], v[104:105]
	;; [unrolled: 1-line block ×4, first 2 shown]
	s_wait_dscnt 0x0
	v_mul_f64_e32 v[122:123], v[38:39], v[102:103]
	v_mul_f64_e32 v[42:43], v[42:43], v[16:17]
	v_mul_f64_e32 v[38:39], v[38:39], v[100:101]
	v_mul_f64_e32 v[124:125], v[58:59], v[14:15]
	v_mul_f64_e32 v[126:127], v[54:55], v[146:147]
	v_mul_f64_e32 v[58:59], v[58:59], v[12:13]
	v_mul_f64_e32 v[54:55], v[54:55], v[144:145]
	s_mov_b32 s2, 0xe8584caa
	s_mov_b32 s3, 0xbfebb67a
	;; [unrolled: 1-line block ×3, first 2 shown]
	s_wait_alu 0xfffe
	s_mov_b32 s10, s2
	global_wb scope:SCOPE_SE
	s_barrier_signal -1
	s_barrier_wait -1
	global_inv scope:SCOPE_SE
	v_fma_f64 v[104:105], v[48:49], v[104:105], v[116:117]
	v_fma_f64 v[112:113], v[44:45], v[112:113], v[118:119]
	v_fma_f64 v[48:49], v[48:49], v[106:107], -v[50:51]
	v_fma_f64 v[44:45], v[44:45], v[114:115], -v[46:47]
	v_fma_f64 v[16:17], v[40:41], v[16:17], v[120:121]
	v_fma_f64 v[46:47], v[36:37], v[100:101], v[122:123]
	v_fma_f64 v[18:19], v[40:41], v[18:19], -v[42:43]
	v_fma_f64 v[38:39], v[36:37], v[102:103], -v[38:39]
	;; [unrolled: 4-line block ×3, first 2 shown]
	v_add_f64_e32 v[100:101], v[8:9], v[104:105]
	v_add_f64_e32 v[36:37], v[104:105], v[112:113]
	v_add_f64_e64 v[104:105], v[104:105], -v[112:113]
	v_add_f64_e32 v[50:51], v[48:49], v[44:45]
	v_add_f64_e64 v[102:103], v[48:49], -v[44:45]
	v_add_f64_e32 v[52:53], v[16:17], v[46:47]
	v_add_f64_e32 v[48:49], v[10:11], v[48:49]
	;; [unrolled: 1-line block ×8, first 2 shown]
	v_add_f64_e64 v[120:121], v[16:17], -v[46:47]
	v_add_f64_e64 v[14:15], v[14:15], -v[42:43]
	;; [unrolled: 1-line block ×3, first 2 shown]
	v_add_f64_e32 v[114:115], v[6:7], v[18:19]
	v_add_f64_e32 v[16:17], v[100:101], v[112:113]
	v_fma_f64 v[8:9], v[36:37], -0.5, v[8:9]
	v_fma_f64 v[10:11], v[50:51], -0.5, v[10:11]
	v_add_f64_e64 v[50:51], v[18:19], -v[38:39]
	v_fma_f64 v[52:53], v[52:53], -0.5, v[4:5]
	v_add_f64_e32 v[18:19], v[48:49], v[44:45]
	v_fma_f64 v[54:55], v[54:55], -0.5, v[6:7]
	v_add_f64_e32 v[36:37], v[106:107], v[46:47]
	v_fma_f64 v[56:57], v[56:57], -0.5, v[0:1]
	v_add_f64_e32 v[4:5], v[116:117], v[40:41]
	v_fma_f64 v[58:59], v[58:59], -0.5, v[2:3]
	v_add_f64_e32 v[6:7], v[42:43], v[118:119]
	v_add_f64_e32 v[38:39], v[114:115], v[38:39]
	v_fma_f64 v[40:41], v[102:103], s[2:3], v[8:9]
	s_wait_alu 0xfffe
	v_fma_f64 v[44:45], v[102:103], s[10:11], v[8:9]
	v_fma_f64 v[42:43], v[104:105], s[10:11], v[10:11]
	;; [unrolled: 1-line block ×11, first 2 shown]
	ds_store_b128 v240, v[16:19]
	ds_store_b128 v240, v[40:43] offset:352
	ds_store_b128 v240, v[44:47] offset:704
	ds_store_b128 v239, v[36:39]
	ds_store_b128 v239, v[48:51] offset:352
	ds_store_b128 v239, v[0:3] offset:704
	s_and_saveexec_b32 s2, s0
	s_cbranch_execz .LBB0_25
; %bb.24:
	v_mad_u16 v16, 0x42, v233, v234
	s_delay_alu instid0(VALU_DEP_1) | instskip(NEXT) | instid1(VALU_DEP_1)
	v_and_b32_e32 v16, 0xffff, v16
	v_lshlrev_b32_e32 v16, 4, v16
	ds_store_b128 v16, v[4:7]
	ds_store_b128 v16, v[8:11] offset:352
	ds_store_b128 v16, v[12:15] offset:704
.LBB0_25:
	s_wait_alu 0xfffe
	s_or_b32 exec_lo, exec_lo, s2
	global_wb scope:SCOPE_SE
	s_wait_dscnt 0x0
	s_barrier_signal -1
	s_barrier_wait -1
	global_inv scope:SCOPE_SE
	ds_load_b128 v[16:19], v231
	ds_load_b128 v[48:51], v231 offset:4224
	ds_load_b128 v[36:39], v231 offset:8448
	;; [unrolled: 1-line block ×4, first 2 shown]
	s_and_saveexec_b32 s0, s1
	s_cbranch_execz .LBB0_27
; %bb.26:
	ds_load_b128 v[0:3], v231 offset:2640
	ds_load_b128 v[4:7], v231 offset:6864
	;; [unrolled: 1-line block ×5, first 2 shown]
.LBB0_27:
	s_wait_alu 0xfffe
	s_or_b32 exec_lo, exec_lo, s0
	s_wait_dscnt 0x3
	v_mul_f64_e32 v[52:53], v[74:75], v[50:51]
	s_wait_dscnt 0x2
	v_mul_f64_e32 v[54:55], v[62:63], v[38:39]
	;; [unrolled: 2-line block ×3, first 2 shown]
	v_mul_f64_e32 v[58:59], v[74:75], v[48:49]
	s_wait_dscnt 0x0
	v_mul_f64_e32 v[74:75], v[66:67], v[46:47]
	v_mul_f64_e32 v[62:63], v[62:63], v[36:37]
	;; [unrolled: 1-line block ×4, first 2 shown]
	s_mov_b32 s2, 0x134454ff
	s_mov_b32 s3, 0xbfee6f0e
	;; [unrolled: 1-line block ×3, first 2 shown]
	s_wait_alu 0xfffe
	s_mov_b32 s10, s2
	s_mov_b32 s16, 0x4755a5e
	;; [unrolled: 1-line block ×4, first 2 shown]
	s_wait_alu 0xfffe
	s_mov_b32 s14, s16
	s_mov_b32 s18, 0x372fe950
	;; [unrolled: 1-line block ×3, first 2 shown]
	global_wb scope:SCOPE_SE
	s_barrier_signal -1
	s_barrier_wait -1
	global_inv scope:SCOPE_SE
	v_fma_f64 v[48:49], v[72:73], v[48:49], v[52:53]
	v_fma_f64 v[36:37], v[60:61], v[36:37], v[54:55]
	;; [unrolled: 1-line block ×3, first 2 shown]
	v_fma_f64 v[50:51], v[72:73], v[50:51], -v[58:59]
	v_fma_f64 v[44:45], v[64:65], v[44:45], v[74:75]
	v_fma_f64 v[38:39], v[60:61], v[38:39], -v[62:63]
	v_fma_f64 v[42:43], v[68:69], v[42:43], -v[70:71]
	;; [unrolled: 1-line block ×3, first 2 shown]
	v_add_f64_e32 v[60:61], v[16:17], v[48:49]
	v_add_f64_e32 v[52:53], v[36:37], v[40:41]
	;; [unrolled: 1-line block ×4, first 2 shown]
	v_add_f64_e64 v[68:69], v[48:49], -v[44:45]
	v_add_f64_e32 v[56:57], v[38:39], v[42:43]
	v_add_f64_e32 v[58:59], v[50:51], v[46:47]
	v_add_f64_e64 v[62:63], v[50:51], -v[46:47]
	v_add_f64_e64 v[64:65], v[38:39], -v[42:43]
	;; [unrolled: 1-line block ×8, first 2 shown]
	v_fma_f64 v[52:53], v[52:53], -0.5, v[16:17]
	v_add_f64_e32 v[38:39], v[66:67], v[38:39]
	v_fma_f64 v[16:17], v[54:55], -0.5, v[16:17]
	v_add_f64_e64 v[54:55], v[36:37], -v[40:41]
	v_fma_f64 v[56:57], v[56:57], -0.5, v[18:19]
	v_fma_f64 v[18:19], v[58:59], -0.5, v[18:19]
	v_add_f64_e64 v[58:59], v[48:49], -v[36:37]
	v_add_f64_e64 v[48:49], v[36:37], -v[48:49]
	v_add_f64_e32 v[36:37], v[60:61], v[36:37]
	v_add_f64_e32 v[50:51], v[50:51], v[102:103]
	v_fma_f64 v[60:61], v[62:63], s[2:3], v[52:53]
	v_fma_f64 v[52:53], v[62:63], s[10:11], v[52:53]
	;; [unrolled: 1-line block ×8, first 2 shown]
	v_add_f64_e32 v[36:37], v[36:37], v[40:41]
	v_add_f64_e32 v[38:39], v[38:39], v[42:43]
	;; [unrolled: 1-line block ×5, first 2 shown]
	v_fma_f64 v[40:41], v[64:65], s[16:17], v[60:61]
	s_wait_alu 0xfffe
	v_fma_f64 v[42:43], v[64:65], s[14:15], v[52:53]
	v_fma_f64 v[52:53], v[62:63], s[16:17], v[66:67]
	v_fma_f64 v[60:61], v[62:63], s[14:15], v[16:17]
	v_fma_f64 v[62:63], v[54:55], s[14:15], v[104:105]
	v_fma_f64 v[64:65], v[68:69], s[14:15], v[106:107]
	v_fma_f64 v[66:67], v[68:69], s[16:17], v[18:19]
	v_fma_f64 v[54:55], v[54:55], s[16:17], v[56:57]
	v_add_f64_e32 v[16:17], v[36:37], v[44:45]
	v_add_f64_e32 v[18:19], v[38:39], v[46:47]
	v_fma_f64 v[36:37], v[58:59], s[18:19], v[40:41]
	v_fma_f64 v[40:41], v[58:59], s[18:19], v[42:43]
	;; [unrolled: 1-line block ×8, first 2 shown]
	ds_store_b128 v242, v[16:19]
	ds_store_b128 v242, v[36:39] offset:1056
	ds_store_b128 v242, v[44:47] offset:2112
	;; [unrolled: 1-line block ×4, first 2 shown]
	s_and_saveexec_b32 s0, s1
	s_cbranch_execz .LBB0_29
; %bb.28:
	v_mul_f64_e32 v[16:17], v[34:35], v[8:9]
	v_mul_f64_e32 v[18:19], v[22:23], v[4:5]
	;; [unrolled: 1-line block ×8, first 2 shown]
	v_fma_f64 v[10:11], v[32:33], v[10:11], -v[16:17]
	v_fma_f64 v[6:7], v[20:21], v[6:7], -v[18:19]
	;; [unrolled: 1-line block ×4, first 2 shown]
	v_fma_f64 v[8:9], v[32:33], v[8:9], v[34:35]
	v_fma_f64 v[12:13], v[28:29], v[12:13], v[30:31]
	;; [unrolled: 1-line block ×4, first 2 shown]
	v_add_f64_e32 v[32:33], v[6:7], v[2:3]
	v_add_f64_e32 v[20:21], v[16:17], v[6:7]
	;; [unrolled: 1-line block ×3, first 2 shown]
	v_add_f64_e64 v[36:37], v[6:7], -v[16:17]
	v_add_f64_e32 v[24:25], v[8:9], v[12:13]
	v_add_f64_e32 v[34:35], v[0:1], v[4:5]
	;; [unrolled: 1-line block ×3, first 2 shown]
	v_add_f64_e64 v[28:29], v[8:9], -v[12:13]
	v_add_f64_e64 v[30:31], v[4:5], -v[18:19]
	;; [unrolled: 1-line block ×8, first 2 shown]
	v_fma_f64 v[20:21], v[20:21], -0.5, v[2:3]
	v_fma_f64 v[2:3], v[22:23], -0.5, v[2:3]
	v_add_f64_e64 v[22:23], v[10:11], -v[14:15]
	v_fma_f64 v[24:25], v[24:25], -0.5, v[0:1]
	v_add_f64_e32 v[8:9], v[8:9], v[34:35]
	v_fma_f64 v[0:1], v[26:27], -0.5, v[0:1]
	v_add_f64_e64 v[26:27], v[10:11], -v[6:7]
	v_add_f64_e64 v[6:7], v[6:7], -v[10:11]
	v_add_f64_e32 v[10:11], v[10:11], v[32:33]
	v_fma_f64 v[32:33], v[28:29], s[10:11], v[20:21]
	v_fma_f64 v[20:21], v[28:29], s[2:3], v[20:21]
	;; [unrolled: 1-line block ×8, first 2 shown]
	v_add_f64_e32 v[26:27], v[38:39], v[26:27]
	v_add_f64_e32 v[38:39], v[40:41], v[6:7]
	;; [unrolled: 1-line block ×6, first 2 shown]
	v_fma_f64 v[8:9], v[30:31], s[16:17], v[32:33]
	v_fma_f64 v[10:11], v[30:31], s[14:15], v[20:21]
	;; [unrolled: 1-line block ×8, first 2 shown]
	v_add_f64_e32 v[2:3], v[16:17], v[4:5]
	v_add_f64_e32 v[0:1], v[18:19], v[6:7]
	v_fma_f64 v[6:7], v[26:27], s[18:19], v[8:9]
	v_fma_f64 v[10:11], v[26:27], s[18:19], v[10:11]
	;; [unrolled: 1-line block ×8, first 2 shown]
	v_and_b32_e32 v20, 0xffff, v241
	s_delay_alu instid0(VALU_DEP_1)
	v_lshlrev_b32_e32 v20, 4, v20
	ds_store_b128 v20, v[0:3]
	ds_store_b128 v20, v[16:19] offset:1056
	ds_store_b128 v20, v[8:11] offset:2112
	;; [unrolled: 1-line block ×4, first 2 shown]
.LBB0_29:
	s_wait_alu 0xfffe
	s_or_b32 exec_lo, exec_lo, s0
	global_wb scope:SCOPE_SE
	s_wait_dscnt 0x0
	s_barrier_signal -1
	s_barrier_wait -1
	global_inv scope:SCOPE_SE
	ds_load_b128 v[0:3], v231 offset:5280
	ds_load_b128 v[4:7], v231 offset:10560
	;; [unrolled: 1-line block ×6, first 2 shown]
	s_wait_dscnt 0x5
	v_mul_f64_e32 v[24:25], v[86:87], v[2:3]
	v_mul_f64_e32 v[26:27], v[86:87], v[0:1]
	s_wait_dscnt 0x4
	v_mul_f64_e32 v[28:29], v[82:83], v[6:7]
	v_mul_f64_e32 v[30:31], v[82:83], v[4:5]
	;; [unrolled: 3-line block ×6, first 2 shown]
	v_fma_f64 v[24:25], v[84:85], v[0:1], v[24:25]
	v_fma_f64 v[26:27], v[84:85], v[2:3], -v[26:27]
	v_fma_f64 v[28:29], v[80:81], v[4:5], v[28:29]
	v_fma_f64 v[30:31], v[80:81], v[6:7], -v[30:31]
	;; [unrolled: 2-line block ×6, first 2 shown]
	ds_load_b128 v[0:3], v231
	ds_load_b128 v[4:7], v231 offset:2640
	s_wait_dscnt 0x1
	v_add_f64_e64 v[28:29], v[0:1], -v[28:29]
	v_add_f64_e64 v[30:31], v[2:3], -v[30:31]
	;; [unrolled: 1-line block ×4, first 2 shown]
	s_wait_dscnt 0x0
	v_add_f64_e64 v[32:33], v[4:5], -v[16:17]
	v_add_f64_e64 v[34:35], v[6:7], -v[18:19]
	;; [unrolled: 1-line block ×4, first 2 shown]
	v_fma_f64 v[36:37], v[0:1], 2.0, -v[28:29]
	v_fma_f64 v[38:39], v[2:3], 2.0, -v[30:31]
	;; [unrolled: 1-line block ×4, first 2 shown]
	v_add_f64_e32 v[0:1], v[28:29], v[10:11]
	v_add_f64_e64 v[2:3], v[30:31], -v[8:9]
	v_fma_f64 v[40:41], v[4:5], 2.0, -v[32:33]
	v_fma_f64 v[42:43], v[6:7], 2.0, -v[34:35]
	;; [unrolled: 1-line block ×4, first 2 shown]
	v_add_f64_e32 v[4:5], v[32:33], v[18:19]
	v_add_f64_e64 v[6:7], v[34:35], -v[16:17]
	v_add_f64_e64 v[8:9], v[36:37], -v[20:21]
	;; [unrolled: 1-line block ×3, first 2 shown]
	v_fma_f64 v[16:17], v[28:29], 2.0, -v[0:1]
	v_fma_f64 v[18:19], v[30:31], 2.0, -v[2:3]
	v_add_f64_e64 v[12:13], v[40:41], -v[12:13]
	v_add_f64_e64 v[14:15], v[42:43], -v[14:15]
	v_fma_f64 v[20:21], v[32:33], 2.0, -v[4:5]
	v_fma_f64 v[22:23], v[34:35], 2.0, -v[6:7]
	;; [unrolled: 1-line block ×6, first 2 shown]
	ds_store_b128 v231, v[0:3] offset:15840
	ds_store_b128 v231, v[4:7] offset:18480
	;; [unrolled: 1-line block ×6, first 2 shown]
	ds_store_b128 v231, v[24:27]
	ds_store_b128 v231, v[28:31] offset:2640
	global_wb scope:SCOPE_SE
	s_wait_dscnt 0x0
	s_barrier_signal -1
	s_barrier_wait -1
	global_inv scope:SCOPE_SE
	s_and_b32 exec_lo, exec_lo, vcc_lo
	s_cbranch_execz .LBB0_31
; %bb.30:
	s_clause 0xa
	global_load_b128 v[0:3], v229, s[12:13]
	global_load_b128 v[4:7], v229, s[12:13] offset:1920
	global_load_b128 v[8:11], v229, s[12:13] offset:3840
	;; [unrolled: 1-line block ×10, first 2 shown]
	v_mad_co_u64_u32 v[88:89], null, s6, v148, 0
	v_mad_co_u64_u32 v[90:91], null, s4, v230, 0
	ds_load_b128 v[44:47], v231
	ds_load_b128 v[48:51], v229 offset:1920
	ds_load_b128 v[52:55], v229 offset:3840
	;; [unrolled: 1-line block ×3, first 2 shown]
	s_mul_u64 s[0:1], s[4:5], 0x780
	s_mov_b32 s2, 0x8d3018d3
	v_mov_b32_e32 v60, v89
	s_mov_b32 s3, 0x3f48d301
	v_mov_b32_e32 v68, v91
	s_delay_alu instid0(VALU_DEP_2)
	v_mad_co_u64_u32 v[76:77], null, s7, v148, v[60:61]
	ds_load_b128 v[60:63], v229 offset:7680
	ds_load_b128 v[64:67], v229 offset:9600
	v_mad_co_u64_u32 v[91:92], null, s5, v230, v[68:69]
	ds_load_b128 v[68:71], v229 offset:11520
	ds_load_b128 v[72:75], v229 offset:13440
	v_mov_b32_e32 v89, v76
	ds_load_b128 v[76:79], v229 offset:15360
	ds_load_b128 v[80:83], v229 offset:17280
	;; [unrolled: 1-line block ×3, first 2 shown]
	v_lshlrev_b64_e32 v[90:91], 4, v[90:91]
	v_lshlrev_b64_e32 v[88:89], 4, v[88:89]
	s_delay_alu instid0(VALU_DEP_1) | instskip(NEXT) | instid1(VALU_DEP_2)
	v_add_co_u32 v88, vcc_lo, s8, v88
	v_add_co_ci_u32_e32 v89, vcc_lo, s9, v89, vcc_lo
	s_delay_alu instid0(VALU_DEP_2) | instskip(SKIP_1) | instid1(VALU_DEP_2)
	v_add_co_u32 v88, vcc_lo, v88, v90
	s_wait_alu 0xfffd
	v_add_co_ci_u32_e32 v89, vcc_lo, v89, v91, vcc_lo
	s_wait_alu 0xfffe
	s_delay_alu instid0(VALU_DEP_2) | instskip(SKIP_1) | instid1(VALU_DEP_2)
	v_add_co_u32 v90, vcc_lo, v88, s0
	s_wait_alu 0xfffd
	v_add_co_ci_u32_e32 v91, vcc_lo, s1, v89, vcc_lo
	s_wait_loadcnt_dscnt 0xa0a
	v_mul_f64_e32 v[92:93], v[46:47], v[2:3]
	v_mul_f64_e32 v[2:3], v[44:45], v[2:3]
	s_wait_loadcnt_dscnt 0x909
	v_mul_f64_e32 v[94:95], v[50:51], v[6:7]
	v_mul_f64_e32 v[6:7], v[48:49], v[6:7]
	;; [unrolled: 3-line block ×11, first 2 shown]
	v_fma_f64 v[44:45], v[44:45], v[0:1], v[92:93]
	v_fma_f64 v[2:3], v[0:1], v[46:47], -v[2:3]
	v_fma_f64 v[46:47], v[48:49], v[4:5], v[94:95]
	v_fma_f64 v[6:7], v[4:5], v[50:51], -v[6:7]
	;; [unrolled: 2-line block ×11, first 2 shown]
	v_add_co_u32 v66, vcc_lo, v90, s0
	s_wait_alu 0xfffd
	v_add_co_ci_u32_e32 v67, vcc_lo, s1, v91, vcc_lo
	s_delay_alu instid0(VALU_DEP_2) | instskip(SKIP_1) | instid1(VALU_DEP_2)
	v_add_co_u32 v68, vcc_lo, v66, s0
	s_wait_alu 0xfffd
	v_add_co_ci_u32_e32 v69, vcc_lo, s1, v67, vcc_lo
	s_delay_alu instid0(VALU_DEP_2) | instskip(SKIP_1) | instid1(VALU_DEP_2)
	v_add_co_u32 v70, vcc_lo, v68, s0
	s_wait_alu 0xfffd
	v_add_co_ci_u32_e32 v71, vcc_lo, s1, v69, vcc_lo
	v_mul_f64_e32 v[0:1], s[2:3], v[44:45]
	v_mul_f64_e32 v[2:3], s[2:3], v[2:3]
	;; [unrolled: 1-line block ×22, first 2 shown]
	v_add_co_u32 v44, vcc_lo, v70, s0
	s_wait_alu 0xfffd
	v_add_co_ci_u32_e32 v45, vcc_lo, s1, v71, vcc_lo
	s_delay_alu instid0(VALU_DEP_2) | instskip(SKIP_1) | instid1(VALU_DEP_2)
	v_add_co_u32 v46, vcc_lo, v44, s0
	s_wait_alu 0xfffd
	v_add_co_ci_u32_e32 v47, vcc_lo, s1, v45, vcc_lo
	s_delay_alu instid0(VALU_DEP_2) | instskip(SKIP_1) | instid1(VALU_DEP_2)
	;; [unrolled: 4-line block ×5, first 2 shown]
	v_add_co_u32 v54, vcc_lo, v52, s0
	s_wait_alu 0xfffd
	v_add_co_ci_u32_e32 v55, vcc_lo, s1, v53, vcc_lo
	s_clause 0x4
	global_store_b128 v[88:89], v[0:3], off
	global_store_b128 v[90:91], v[4:7], off
	global_store_b128 v[66:67], v[8:11], off
	global_store_b128 v[68:69], v[12:15], off
	global_store_b128 v[70:71], v[16:19], off
	global_store_b128 v[44:45], v[20:23], off
	global_store_b128 v[46:47], v[24:27], off
	global_store_b128 v[48:49], v[28:31], off
	global_store_b128 v[50:51], v[32:35], off
	global_store_b128 v[52:53], v[36:39], off
	global_store_b128 v[54:55], v[40:43], off
.LBB0_31:
	s_nop 0
	s_sendmsg sendmsg(MSG_DEALLOC_VGPRS)
	s_endpgm
	.section	.rodata,"a",@progbits
	.p2align	6, 0x0
	.amdhsa_kernel bluestein_single_fwd_len1320_dim1_dp_op_CI_CI
		.amdhsa_group_segment_fixed_size 21120
		.amdhsa_private_segment_fixed_size 0
		.amdhsa_kernarg_size 104
		.amdhsa_user_sgpr_count 2
		.amdhsa_user_sgpr_dispatch_ptr 0
		.amdhsa_user_sgpr_queue_ptr 0
		.amdhsa_user_sgpr_kernarg_segment_ptr 1
		.amdhsa_user_sgpr_dispatch_id 0
		.amdhsa_user_sgpr_private_segment_size 0
		.amdhsa_wavefront_size32 1
		.amdhsa_uses_dynamic_stack 0
		.amdhsa_enable_private_segment 0
		.amdhsa_system_sgpr_workgroup_id_x 1
		.amdhsa_system_sgpr_workgroup_id_y 0
		.amdhsa_system_sgpr_workgroup_id_z 0
		.amdhsa_system_sgpr_workgroup_info 0
		.amdhsa_system_vgpr_workitem_id 0
		.amdhsa_next_free_vgpr 245
		.amdhsa_next_free_sgpr 40
		.amdhsa_reserve_vcc 1
		.amdhsa_float_round_mode_32 0
		.amdhsa_float_round_mode_16_64 0
		.amdhsa_float_denorm_mode_32 3
		.amdhsa_float_denorm_mode_16_64 3
		.amdhsa_fp16_overflow 0
		.amdhsa_workgroup_processor_mode 1
		.amdhsa_memory_ordered 1
		.amdhsa_forward_progress 0
		.amdhsa_round_robin_scheduling 0
		.amdhsa_exception_fp_ieee_invalid_op 0
		.amdhsa_exception_fp_denorm_src 0
		.amdhsa_exception_fp_ieee_div_zero 0
		.amdhsa_exception_fp_ieee_overflow 0
		.amdhsa_exception_fp_ieee_underflow 0
		.amdhsa_exception_fp_ieee_inexact 0
		.amdhsa_exception_int_div_zero 0
	.end_amdhsa_kernel
	.text
.Lfunc_end0:
	.size	bluestein_single_fwd_len1320_dim1_dp_op_CI_CI, .Lfunc_end0-bluestein_single_fwd_len1320_dim1_dp_op_CI_CI
                                        ; -- End function
	.section	.AMDGPU.csdata,"",@progbits
; Kernel info:
; codeLenInByte = 14952
; NumSgprs: 42
; NumVgprs: 245
; ScratchSize: 0
; MemoryBound: 0
; FloatMode: 240
; IeeeMode: 1
; LDSByteSize: 21120 bytes/workgroup (compile time only)
; SGPRBlocks: 5
; VGPRBlocks: 30
; NumSGPRsForWavesPerEU: 42
; NumVGPRsForWavesPerEU: 245
; Occupancy: 5
; WaveLimiterHint : 1
; COMPUTE_PGM_RSRC2:SCRATCH_EN: 0
; COMPUTE_PGM_RSRC2:USER_SGPR: 2
; COMPUTE_PGM_RSRC2:TRAP_HANDLER: 0
; COMPUTE_PGM_RSRC2:TGID_X_EN: 1
; COMPUTE_PGM_RSRC2:TGID_Y_EN: 0
; COMPUTE_PGM_RSRC2:TGID_Z_EN: 0
; COMPUTE_PGM_RSRC2:TIDIG_COMP_CNT: 0
	.text
	.p2alignl 7, 3214868480
	.fill 96, 4, 3214868480
	.type	__hip_cuid_cb2bd086df40b9d9,@object ; @__hip_cuid_cb2bd086df40b9d9
	.section	.bss,"aw",@nobits
	.globl	__hip_cuid_cb2bd086df40b9d9
__hip_cuid_cb2bd086df40b9d9:
	.byte	0                               ; 0x0
	.size	__hip_cuid_cb2bd086df40b9d9, 1

	.ident	"AMD clang version 19.0.0git (https://github.com/RadeonOpenCompute/llvm-project roc-6.4.0 25133 c7fe45cf4b819c5991fe208aaa96edf142730f1d)"
	.section	".note.GNU-stack","",@progbits
	.addrsig
	.addrsig_sym __hip_cuid_cb2bd086df40b9d9
	.amdgpu_metadata
---
amdhsa.kernels:
  - .args:
      - .actual_access:  read_only
        .address_space:  global
        .offset:         0
        .size:           8
        .value_kind:     global_buffer
      - .actual_access:  read_only
        .address_space:  global
        .offset:         8
        .size:           8
        .value_kind:     global_buffer
      - .actual_access:  read_only
        .address_space:  global
        .offset:         16
        .size:           8
        .value_kind:     global_buffer
      - .actual_access:  read_only
        .address_space:  global
        .offset:         24
        .size:           8
        .value_kind:     global_buffer
      - .actual_access:  read_only
        .address_space:  global
        .offset:         32
        .size:           8
        .value_kind:     global_buffer
      - .offset:         40
        .size:           8
        .value_kind:     by_value
      - .address_space:  global
        .offset:         48
        .size:           8
        .value_kind:     global_buffer
      - .address_space:  global
        .offset:         56
        .size:           8
        .value_kind:     global_buffer
      - .address_space:  global
        .offset:         64
        .size:           8
        .value_kind:     global_buffer
      - .address_space:  global
        .offset:         72
        .size:           8
        .value_kind:     global_buffer
      - .offset:         80
        .size:           4
        .value_kind:     by_value
      - .address_space:  global
        .offset:         88
        .size:           8
        .value_kind:     global_buffer
      - .address_space:  global
        .offset:         96
        .size:           8
        .value_kind:     global_buffer
    .group_segment_fixed_size: 21120
    .kernarg_segment_align: 8
    .kernarg_segment_size: 104
    .language:       OpenCL C
    .language_version:
      - 2
      - 0
    .max_flat_workgroup_size: 165
    .name:           bluestein_single_fwd_len1320_dim1_dp_op_CI_CI
    .private_segment_fixed_size: 0
    .sgpr_count:     42
    .sgpr_spill_count: 0
    .symbol:         bluestein_single_fwd_len1320_dim1_dp_op_CI_CI.kd
    .uniform_work_group_size: 1
    .uses_dynamic_stack: false
    .vgpr_count:     245
    .vgpr_spill_count: 0
    .wavefront_size: 32
    .workgroup_processor_mode: 1
amdhsa.target:   amdgcn-amd-amdhsa--gfx1201
amdhsa.version:
  - 1
  - 2
...

	.end_amdgpu_metadata
